;; amdgpu-corpus repo=zjin-lcf/HeCBench kind=compiled arch=gfx1100 opt=O3
	.text
	.amdgcn_target "amdgcn-amd-amdhsa--gfx1100"
	.amdhsa_code_object_version 6
	.section	.text._ZL11MPCcompressILi64EEviPlS0_PVih,"axG",@progbits,_ZL11MPCcompressILi64EEviPlS0_PVih,comdat
	.globl	_ZL11MPCcompressILi64EEviPlS0_PVih ; -- Begin function _ZL11MPCcompressILi64EEviPlS0_PVih
	.p2align	8
	.type	_ZL11MPCcompressILi64EEviPlS0_PVih,@function
_ZL11MPCcompressILi64EEviPlS0_PVih:     ; @_ZL11MPCcompressILi64EEviPlS0_PVih
; %bb.0:
	s_load_b32 s24, s[0:1], 0x0
	s_waitcnt lgkmcnt(0)
	s_add_i32 s2, s24, 0x3ff
	s_delay_alu instid0(SALU_CYCLE_1) | instskip(NEXT) | instid1(SALU_CYCLE_1)
	s_ashr_i32 s3, s2, 31
	s_lshr_b32 s3, s3, 22
	s_delay_alu instid0(SALU_CYCLE_1) | instskip(NEXT) | instid1(SALU_CYCLE_1)
	s_add_i32 s2, s2, s3
	s_ashr_i32 s25, s2, 10
	s_delay_alu instid0(SALU_CYCLE_1)
	s_cmp_ge_i32 s15, s25
	s_cbranch_scc1 .LBB0_29
; %bb.1:
	s_clause 0x3
	s_load_b32 s26, s[0:1], 0x28
	s_load_b32 s2, s[0:1], 0x20
	s_load_b128 s[16:19], s[0:1], 0x8
	s_load_b64 s[12:13], s[0:1], 0x18
	v_mbcnt_lo_u32_b32 v2, -1, 0
	s_add_i32 s0, s24, 63
	s_add_i32 s1, s15, 1
	s_ashr_i32 s3, s0, 31
	s_add_i32 s27, s25, -1
	v_add_nc_u32_e32 v3, -1, v2
	s_lshr_b32 s3, s3, 26
	v_add_nc_u32_e32 v4, -2, v2
	s_add_i32 s0, s0, s3
	v_add_nc_u32_e32 v6, -4, v2
	s_ashr_i32 s28, s0, 6
	v_cmp_gt_i32_e64 s0, 0, v3
	s_add_i32 s28, s28, 1
	s_mov_b32 s14, s15
	v_dual_mov_b32 v32, -1 :: v_dual_and_b32 v1, 0x3c0, v0
	s_waitcnt lgkmcnt(0)
	s_cmp_lg_u32 s1, s26
	v_cndmask_b32_e64 v3, v3, v2, s0
	s_cselect_b32 s10, s1, 0
	v_cmp_gt_i32_e64 s1, 0, v4
	s_and_b32 s29, s2, 0xff
	s_ashr_i32 s15, s15, 31
	v_subrev_nc_u32_e32 v5, s29, v0
	v_lshlrev_b32_e32 v21, 2, v3
	v_cndmask_b32_e64 v3, v4, v2, s1
	v_cmp_gt_i32_e64 s1, 0, v6
	s_lshl_b64 s[20:21], s[14:15], 2
	v_lshlrev_b32_e32 v19, 3, v5
	v_add_nc_u32_e32 v5, -8, v2
	v_lshlrev_b32_e32 v22, 2, v3
	v_add_nc_u32_e32 v3, -16, v2
	v_cndmask_b32_e64 v4, v6, v2, s1
	s_add_u32 s20, s12, s20
	v_cmp_gt_i32_e64 s3, 0, v5
	s_addc_u32 s21, s13, s21
	v_cmp_gt_i32_e64 s4, 0, v3
	v_lshlrev_b32_e32 v23, 2, v4
	s_ashr_i32 s11, s10, 31
	v_cndmask_b32_e64 v4, v5, v2, s3
	v_or_b32_e32 v5, 0xffffffe0, v2
	v_cndmask_b32_e64 v3, v3, v2, s4
	v_dual_mov_b32 v9, 0 :: v_dual_and_b32 v16, 63, v0
	v_lshlrev_b32_e32 v17, 3, v0
	s_delay_alu instid0(VALU_DEP_4) | instskip(NEXT) | instid1(VALU_DEP_4)
	v_cmp_gt_i32_e64 s4, 0, v5
	v_lshlrev_b32_e32 v25, 2, v3
	v_lshrrev_b32_e32 v3, 4, v0
	s_lshl_b64 s[22:23], s[10:11], 2
	v_cmp_ne_u32_e32 vcc_lo, 0, v0
	v_cndmask_b32_e64 v2, v5, v2, s4
	s_add_u32 s22, s12, s22
	v_and_b32_e32 v27, 60, v3
	s_addc_u32 s23, s13, s23
	v_or_b32_e32 v18, 0x2000, v17
	v_cmp_gt_u32_e64 s0, s29, v0
	v_add_nc_u32_e32 v20, -8, v17
	v_cmp_eq_u32_e64 s1, 0, v16
	v_cmp_lt_u32_e64 s2, 1, v16
	v_cmp_lt_u32_e64 s3, 3, v16
	v_lshlrev_b32_e32 v24, 2, v4
	v_cmp_lt_u32_e64 s4, 7, v16
	v_cmp_lt_u32_e64 s5, 15, v16
	v_lshlrev_b32_e32 v26, 2, v2
	v_cmp_lt_u32_e64 s6, 31, v16
	v_cmp_eq_u32_e64 s7, 63, v16
	v_cmp_gt_u32_e64 s8, 64, v0
	v_cmp_lt_u32_e64 s9, 63, v0
	v_lshlrev_b32_e32 v28, 2, v16
	v_add_nc_u32_e32 v29, -4, v27
	v_cmp_eq_u32_e64 s10, 0x3ff, v0
	s_add_u32 s15, s29, 0x43504cff
	v_or_b32_e32 v30, 0x21f8, v17
	v_lshl_or_b32 v31, v1, 3, 0x2000
	s_addc_u32 s29, 0, 0
	s_add_u32 s30, s18, 8
	s_addc_u32 s31, s19, 0
	s_branch .LBB0_3
.LBB0_2:                                ;   in Loop: Header=BB0_3 Depth=1
	s_or_b32 exec_lo, exec_lo, s12
	s_add_i32 s14, s14, s26
	s_delay_alu instid0(SALU_CYCLE_1)
	s_cmp_ge_i32 s14, s25
	s_cbranch_scc1 .LBB0_29
.LBB0_3:                                ; =>This Loop Header: Depth=1
                                        ;     Child Loop BB0_22 Depth 2
	v_lshl_or_b32 v10, s14, 10, v0
	v_mov_b32_e32 v1, 0
	v_mov_b32_e32 v2, 0
	s_delay_alu instid0(VALU_DEP_3) | instskip(SKIP_2) | instid1(VALU_DEP_2)
	v_cmp_le_i32_e64 s12, s24, v10
	v_cmp_gt_i32_e64 s11, s24, v10
	v_ashrrev_i32_e32 v11, 31, v10
	s_and_saveexec_b32 s33, s11
	s_cbranch_execz .LBB0_5
; %bb.4:                                ;   in Loop: Header=BB0_3 Depth=1
	s_delay_alu instid0(VALU_DEP_1) | instskip(NEXT) | instid1(VALU_DEP_1)
	v_lshlrev_b64 v[1:2], 3, v[10:11]
	v_add_co_u32 v1, s13, s16, v1
	s_delay_alu instid0(VALU_DEP_1)
	v_add_co_ci_u32_e64 v2, s13, s17, v2, s13
	global_load_b64 v[1:2], v[1:2], off
	s_waitcnt vmcnt(0)
	ds_store_b64 v17, v[1:2]
.LBB0_5:                                ;   in Loop: Header=BB0_3 Depth=1
	s_or_b32 exec_lo, exec_lo, s33
	s_or_b32 s12, s0, s12
	s_waitcnt lgkmcnt(0)
	s_xor_b32 s12, s12, -1
	s_waitcnt_vscnt null, 0x0
	s_barrier
	buffer_gl0_inv
	s_and_saveexec_b32 s13, s12
	s_cbranch_execz .LBB0_7
; %bb.6:                                ;   in Loop: Header=BB0_3 Depth=1
	ds_load_b64 v[3:4], v19
	s_waitcnt lgkmcnt(0)
	v_sub_co_u32 v1, s12, v1, v3
	s_delay_alu instid0(VALU_DEP_1)
	v_sub_co_ci_u32_e64 v2, s12, v2, v4, s12
.LBB0_7:                                ;   in Loop: Header=BB0_3 Depth=1
	s_or_b32 exec_lo, exec_lo, s13
	ds_store_b64 v18, v[1:2]
	s_waitcnt lgkmcnt(0)
	s_barrier
	buffer_gl0_inv
	ds_load_b64 v[12:13], v30
	ds_load_b128 v[1:4], v31 offset:480
	ds_load_b64 v[14:15], v31 offset:496
	ds_load_b128 v[5:8], v31 offset:464
	ds_load_b128 v[33:36], v31
	s_waitcnt lgkmcnt(4)
	v_lshrrev_b64 v[12:13], v16, v[12:13]
	s_waitcnt lgkmcnt(3)
	v_lshrrev_b64 v[3:4], v16, v[3:4]
	v_lshrrev_b64 v[1:2], v16, v[1:2]
	s_waitcnt lgkmcnt(1)
	v_lshrrev_b64 v[7:8], v16, v[7:8]
	v_lshrrev_b64 v[5:6], v16, v[5:6]
	v_lshlrev_b32_e32 v12, 1, v12
	v_lshlrev_b32_e32 v13, 1, v3
	v_lshrrev_b64 v[3:4], v16, v[14:15]
	v_lshlrev_b32_e32 v2, 1, v7
	s_delay_alu instid0(VALU_DEP_4) | instskip(NEXT) | instid1(VALU_DEP_4)
	v_and_b32_e32 v4, 2, v12
	v_and_b32_e32 v8, 2, v13
	ds_load_b128 v[12:15], v31 offset:448
	v_and_b32_e32 v2, 2, v2
	v_and_or_b32 v3, v3, 1, v4
	s_delay_alu instid0(VALU_DEP_1) | instskip(NEXT) | instid1(VALU_DEP_1)
	v_lshl_or_b32 v3, v3, 2, v8
	v_and_or_b32 v1, v1, 1, v3
	s_delay_alu instid0(VALU_DEP_1)
	v_lshl_or_b32 v8, v1, 2, v2
	ds_load_b128 v[1:4], v31 offset:432
	s_waitcnt lgkmcnt(1)
	v_lshrrev_b64 v[6:7], v16, v[14:15]
	v_lshrrev_b64 v[12:13], v16, v[12:13]
	v_and_or_b32 v8, v5, 1, v8
	s_delay_alu instid0(VALU_DEP_3) | instskip(NEXT) | instid1(VALU_DEP_3)
	v_lshlrev_b32_e32 v5, 1, v6
	v_and_b32_e32 v12, 1, v12
	s_delay_alu instid0(VALU_DEP_3) | instskip(NEXT) | instid1(VALU_DEP_1)
	v_lshlrev_b64 v[13:14], 2, v[8:9]
	v_and_or_b32 v13, v5, 2, v13
	ds_load_b128 v[5:8], v31 offset:416
	s_waitcnt lgkmcnt(1)
	v_lshrrev_b64 v[3:4], v16, v[3:4]
	v_or_b32_e32 v13, v12, v13
	v_lshrrev_b64 v[1:2], v16, v[1:2]
	s_delay_alu instid0(VALU_DEP_2) | instskip(NEXT) | instid1(VALU_DEP_4)
	v_lshlrev_b64 v[12:13], 2, v[13:14]
	v_lshlrev_b32_e32 v2, 1, v3
	s_delay_alu instid0(VALU_DEP_3) | instskip(NEXT) | instid1(VALU_DEP_2)
	v_and_b32_e32 v14, 1, v1
	v_and_or_b32 v12, v2, 2, v12
	ds_load_b128 v[1:4], v31 offset:400
	s_waitcnt lgkmcnt(1)
	v_lshrrev_b64 v[7:8], v16, v[7:8]
	v_or_b32_e32 v12, v14, v12
	v_lshrrev_b64 v[5:6], v16, v[5:6]
	s_delay_alu instid0(VALU_DEP_2) | instskip(NEXT) | instid1(VALU_DEP_4)
	v_lshlrev_b64 v[12:13], 2, v[12:13]
	v_lshlrev_b32_e32 v6, 1, v7
	s_delay_alu instid0(VALU_DEP_3) | instskip(NEXT) | instid1(VALU_DEP_2)
	v_and_b32_e32 v14, 1, v5
	;; [unrolled: 11-line block ×22, first 2 shown]
	v_and_or_b32 v12, v6, 2, v12
	ds_load_b128 v[5:8], v31 offset:64
	s_waitcnt lgkmcnt(1)
	v_lshrrev_b64 v[3:4], v16, v[3:4]
	v_or_b32_e32 v12, v14, v12
	v_lshrrev_b64 v[14:15], v16, v[1:2]
	s_delay_alu instid0(VALU_DEP_2) | instskip(NEXT) | instid1(VALU_DEP_4)
	v_lshlrev_b64 v[12:13], 2, v[12:13]
	v_lshlrev_b32_e32 v15, 1, v3
	ds_load_b128 v[1:4], v31 offset:48
	v_and_b32_e32 v14, 1, v14
	v_and_or_b32 v12, v15, 2, v12
	s_waitcnt lgkmcnt(1)
	v_lshrrev_b64 v[7:8], v16, v[7:8]
	s_delay_alu instid0(VALU_DEP_2) | instskip(SKIP_1) | instid1(VALU_DEP_2)
	v_or_b32_e32 v12, v14, v12
	v_lshrrev_b64 v[14:15], v16, v[5:6]
	v_lshlrev_b64 v[12:13], 2, v[12:13]
	s_delay_alu instid0(VALU_DEP_4) | instskip(NEXT) | instid1(VALU_DEP_3)
	v_lshlrev_b32_e32 v15, 1, v7
	v_and_b32_e32 v14, 1, v14
	ds_load_b128 v[5:8], v31 offset:32
	v_and_or_b32 v12, v15, 2, v12
	s_waitcnt lgkmcnt(1)
	v_lshrrev_b64 v[3:4], v16, v[3:4]
	s_delay_alu instid0(VALU_DEP_2) | instskip(SKIP_1) | instid1(VALU_DEP_3)
	v_or_b32_e32 v12, v14, v12
	v_lshrrev_b64 v[14:15], v16, v[1:2]
	v_lshlrev_b32_e32 v15, 1, v3
	ds_load_b128 v[1:4], v31 offset:16
	v_lshlrev_b64 v[12:13], 2, v[12:13]
	v_and_b32_e32 v14, 1, v14
	s_delay_alu instid0(VALU_DEP_2) | instskip(SKIP_3) | instid1(VALU_DEP_3)
	v_and_or_b32 v12, v15, 2, v12
	s_waitcnt lgkmcnt(1)
	v_lshrrev_b64 v[7:8], v16, v[7:8]
	v_lshrrev_b64 v[5:6], v16, v[5:6]
	v_or_b32_e32 v12, v14, v12
	s_delay_alu instid0(VALU_DEP_3) | instskip(NEXT) | instid1(VALU_DEP_3)
	v_lshlrev_b32_e32 v6, 1, v7
	v_and_b32_e32 v5, 1, v5
	s_delay_alu instid0(VALU_DEP_3) | instskip(SKIP_3) | instid1(VALU_DEP_3)
	v_lshlrev_b64 v[12:13], 2, v[12:13]
	s_waitcnt lgkmcnt(0)
	v_lshrrev_b64 v[3:4], v16, v[3:4]
	v_lshrrev_b64 v[1:2], v16, v[1:2]
	v_and_or_b32 v6, v6, 2, v12
	s_delay_alu instid0(VALU_DEP_3) | instskip(NEXT) | instid1(VALU_DEP_3)
	v_lshlrev_b32_e32 v2, 1, v3
	v_and_b32_e32 v1, 1, v1
	s_delay_alu instid0(VALU_DEP_3) | instskip(SKIP_1) | instid1(VALU_DEP_2)
	v_or_b32_e32 v12, v5, v6
	v_lshrrev_b64 v[6:7], v16, v[33:34]
	v_lshlrev_b64 v[4:5], 2, v[12:13]
	s_delay_alu instid0(VALU_DEP_1) | instskip(SKIP_1) | instid1(VALU_DEP_2)
	v_and_or_b32 v2, v2, 2, v4
	v_lshrrev_b64 v[3:4], v16, v[35:36]
	v_or_b32_e32 v4, v1, v2
	s_delay_alu instid0(VALU_DEP_2) | instskip(NEXT) | instid1(VALU_DEP_2)
	v_lshlrev_b32_e32 v3, 1, v3
	v_lshlrev_b64 v[1:2], 2, v[4:5]
	v_and_b32_e32 v4, 1, v6
	s_delay_alu instid0(VALU_DEP_2) | instskip(NEXT) | instid1(VALU_DEP_1)
	v_and_or_b32 v1, v3, 2, v1
	v_or_b32_e32 v1, v4, v1
	ds_store_b64 v17, v[1:2]
	s_waitcnt lgkmcnt(0)
	s_barrier
	buffer_gl0_inv
	s_and_saveexec_b32 s13, vcc_lo
	s_cbranch_execz .LBB0_9
; %bb.8:                                ;   in Loop: Header=BB0_3 Depth=1
	ds_load_b64 v[3:4], v20
	s_waitcnt lgkmcnt(0)
	v_sub_co_u32 v1, s12, v1, v3
	s_delay_alu instid0(VALU_DEP_1)
	v_sub_co_ci_u32_e64 v2, s12, v2, v4, s12
.LBB0_9:                                ;   in Loop: Header=BB0_3 Depth=1
	s_or_b32 exec_lo, exec_lo, s13
	s_delay_alu instid0(VALU_DEP_1)
	v_cmp_ne_u64_e64 s12, 0, v[1:2]
	s_and_saveexec_b32 s13, s11
	s_cbranch_execz .LBB0_11
; %bb.10:                               ;   in Loop: Header=BB0_3 Depth=1
	v_lshrrev_b32_e32 v3, 26, v11
	s_delay_alu instid0(VALU_DEP_1) | instskip(NEXT) | instid1(VALU_DEP_1)
	v_dual_mov_b32 v8, s12 :: v_dual_add_nc_u32 v3, v10, v3
	v_ashrrev_i32_e32 v3, 6, v3
	s_delay_alu instid0(VALU_DEP_1) | instskip(NEXT) | instid1(VALU_DEP_1)
	v_ashrrev_i32_e32 v4, 31, v3
	v_lshlrev_b64 v[3:4], 3, v[3:4]
	s_delay_alu instid0(VALU_DEP_1) | instskip(NEXT) | instid1(VALU_DEP_1)
	v_add_co_u32 v3, s11, s30, v3
	v_add_co_ci_u32_e64 v4, s11, s31, v4, s11
	global_store_b64 v[3:4], v[8:9], off
.LBB0_11:                               ;   in Loop: Header=BB0_3 Depth=1
	s_or_b32 exec_lo, exec_lo, s13
	s_delay_alu instid0(VALU_DEP_1) | instskip(SKIP_3) | instid1(VALU_DEP_1)
	v_cndmask_b32_e64 v3, 0, 1, s12
	ds_bpermute_b32 v4, v21, v3
	s_waitcnt lgkmcnt(0)
	v_cndmask_b32_e64 v4, v4, 0, s1
	v_add_nc_u32_e32 v4, v4, v3
	ds_bpermute_b32 v5, v22, v4
	s_waitcnt lgkmcnt(0)
	v_cndmask_b32_e64 v5, 0, v5, s2
	s_delay_alu instid0(VALU_DEP_1) | instskip(SKIP_3) | instid1(VALU_DEP_1)
	v_add_nc_u32_e32 v4, v4, v5
	ds_bpermute_b32 v5, v23, v4
	s_waitcnt lgkmcnt(0)
	v_cndmask_b32_e64 v5, 0, v5, s3
	v_add_nc_u32_e32 v4, v4, v5
	ds_bpermute_b32 v5, v24, v4
	s_waitcnt lgkmcnt(0)
	v_cndmask_b32_e64 v5, 0, v5, s4
	s_delay_alu instid0(VALU_DEP_1) | instskip(SKIP_3) | instid1(VALU_DEP_1)
	v_add_nc_u32_e32 v4, v4, v5
	ds_bpermute_b32 v5, v25, v4
	s_waitcnt lgkmcnt(0)
	v_cndmask_b32_e64 v5, 0, v5, s5
	v_add_nc_u32_e32 v4, v4, v5
	ds_bpermute_b32 v5, v26, v4
	s_waitcnt lgkmcnt(0)
	v_cndmask_b32_e64 v5, 0, v5, s6
	s_delay_alu instid0(VALU_DEP_1)
	v_add_nc_u32_e32 v4, v4, v5
	s_and_saveexec_b32 s11, s7
	s_cbranch_execz .LBB0_13
; %bb.12:                               ;   in Loop: Header=BB0_3 Depth=1
	ds_store_b32 v27, v4
.LBB0_13:                               ;   in Loop: Header=BB0_3 Depth=1
	s_or_b32 exec_lo, exec_lo, s11
	s_waitcnt lgkmcnt(0)
	s_waitcnt_vscnt null, 0x0
	s_barrier
	buffer_gl0_inv
	s_and_saveexec_b32 s11, s8
	s_cbranch_execz .LBB0_15
; %bb.14:                               ;   in Loop: Header=BB0_3 Depth=1
	ds_load_b32 v5, v28
	s_waitcnt lgkmcnt(0)
	ds_bpermute_b32 v6, v21, v5
	s_waitcnt lgkmcnt(0)
	v_cndmask_b32_e64 v6, v6, 0, s1
	s_delay_alu instid0(VALU_DEP_1) | instskip(SKIP_3) | instid1(VALU_DEP_1)
	v_add_nc_u32_e32 v5, v6, v5
	ds_bpermute_b32 v6, v22, v5
	s_waitcnt lgkmcnt(0)
	v_cndmask_b32_e64 v6, 0, v6, s2
	v_add_nc_u32_e32 v5, v6, v5
	ds_bpermute_b32 v6, v23, v5
	s_waitcnt lgkmcnt(0)
	v_cndmask_b32_e64 v6, 0, v6, s3
	s_delay_alu instid0(VALU_DEP_1) | instskip(SKIP_3) | instid1(VALU_DEP_1)
	v_add_nc_u32_e32 v5, v6, v5
	ds_bpermute_b32 v6, v24, v5
	s_waitcnt lgkmcnt(0)
	v_cndmask_b32_e64 v6, 0, v6, s4
	v_add_nc_u32_e32 v5, v6, v5
	ds_bpermute_b32 v6, v25, v5
	s_waitcnt lgkmcnt(0)
	v_cndmask_b32_e64 v6, 0, v6, s5
	s_delay_alu instid0(VALU_DEP_1) | instskip(SKIP_3) | instid1(VALU_DEP_1)
	v_add_nc_u32_e32 v5, v6, v5
	ds_bpermute_b32 v6, v26, v5
	s_waitcnt lgkmcnt(0)
	v_cndmask_b32_e64 v6, 0, v6, s6
	v_add_nc_u32_e32 v5, v6, v5
	ds_store_b32 v28, v5
.LBB0_15:                               ;   in Loop: Header=BB0_3 Depth=1
	s_or_b32 exec_lo, exec_lo, s11
	v_cndmask_b32_e64 v3, v4, v3, s1
	s_waitcnt lgkmcnt(0)
	s_barrier
	buffer_gl0_inv
	s_and_saveexec_b32 s11, s9
	s_cbranch_execnz .LBB0_18
; %bb.16:                               ;   in Loop: Header=BB0_3 Depth=1
	s_or_b32 exec_lo, exec_lo, s11
	s_and_saveexec_b32 s11, s12
	s_cbranch_execnz .LBB0_19
.LBB0_17:                               ;   in Loop: Header=BB0_3 Depth=1
	s_or_b32 exec_lo, exec_lo, s11
	s_and_saveexec_b32 s12, s10
	s_cbranch_execnz .LBB0_20
	s_branch .LBB0_27
.LBB0_18:                               ;   in Loop: Header=BB0_3 Depth=1
	ds_load_b32 v4, v29
	s_waitcnt lgkmcnt(0)
	v_add_nc_u32_e32 v3, v4, v3
	s_or_b32 exec_lo, exec_lo, s11
	s_and_saveexec_b32 s11, s12
	s_cbranch_execz .LBB0_17
.LBB0_19:                               ;   in Loop: Header=BB0_3 Depth=1
	s_delay_alu instid0(VALU_DEP_1)
	v_lshlrev_b32_e32 v4, 3, v3
	ds_store_b64 v4, v[1:2] offset:8184
	s_or_b32 exec_lo, exec_lo, s11
	s_and_saveexec_b32 s12, s10
	s_cbranch_execz .LBB0_27
.LBB0_20:                               ;   in Loop: Header=BB0_3 Depth=1
	v_mov_b32_e32 v4, s28
	s_cmp_lt_i32 s14, 1
	s_cbranch_scc1 .LBB0_24
; %bb.21:                               ;   in Loop: Header=BB0_3 Depth=1
	s_mov_b32 s13, 0
.LBB0_22:                               ;   Parent Loop BB0_3 Depth=1
                                        ; =>  This Inner Loop Header: Depth=2
	v_dual_mov_b32 v1, s20 :: v_dual_mov_b32 v2, s21
	flat_load_b32 v4, v[1:2] glc dlc
	s_waitcnt vmcnt(0) lgkmcnt(0)
	v_cmp_lt_i32_e64 s11, -1, v4
	s_delay_alu instid0(VALU_DEP_1) | instskip(NEXT) | instid1(SALU_CYCLE_1)
	s_or_b32 s13, s11, s13
	s_and_not1_b32 exec_lo, exec_lo, s13
	s_cbranch_execnz .LBB0_22
; %bb.23:                               ;   in Loop: Header=BB0_3 Depth=1
	s_or_b32 exec_lo, exec_lo, s13
.LBB0_24:                               ;   in Loop: Header=BB0_3 Depth=1
	v_mov_b32_e32 v5, s22
	s_delay_alu instid0(VALU_DEP_2)
	v_dual_mov_b32 v6, s23 :: v_dual_add_nc_u32 v1, v4, v3
	v_dual_mov_b32 v7, s20 :: v_dual_mov_b32 v8, s21
	s_cmp_lg_u32 s14, s27
	flat_store_b32 v[5:6], v1 dlc
	s_waitcnt_vscnt null, 0x0
	flat_store_b32 v[7:8], v32 dlc
	s_waitcnt_vscnt null, 0x0
	s_cbranch_scc1 .LBB0_26
; %bb.25:                               ;   in Loop: Header=BB0_3 Depth=1
	v_or_b32_e32 v2, s29, v1
	v_mov_b32_e32 v1, s15
	global_store_b64 v9, v[1:2], s[18:19]
.LBB0_26:                               ;   in Loop: Header=BB0_3 Depth=1
	ds_store_b64 v9, v[3:4] offset:16384
.LBB0_27:                               ;   in Loop: Header=BB0_3 Depth=1
	s_or_b32 exec_lo, exec_lo, s12
	s_waitcnt lgkmcnt(0)
	s_waitcnt_vscnt null, 0x0
	s_barrier
	buffer_gl0_inv
	ds_load_b32 v1, v9 offset:16384
	s_mov_b32 s12, exec_lo
	s_waitcnt lgkmcnt(0)
	v_cmpx_lt_i32_e64 v0, v1
	s_cbranch_execz .LBB0_2
; %bb.28:                               ;   in Loop: Header=BB0_3 Depth=1
	ds_load_b32 v1, v9 offset:16388
	ds_load_b64 v[3:4], v18
	s_waitcnt lgkmcnt(1)
	v_add_nc_u32_e32 v1, v1, v0
	s_delay_alu instid0(VALU_DEP_1) | instskip(NEXT) | instid1(VALU_DEP_1)
	v_ashrrev_i32_e32 v2, 31, v1
	v_lshlrev_b64 v[1:2], 3, v[1:2]
	s_delay_alu instid0(VALU_DEP_1) | instskip(NEXT) | instid1(VALU_DEP_1)
	v_add_co_u32 v1, s11, s18, v1
	v_add_co_ci_u32_e64 v2, s11, s19, v2, s11
	s_waitcnt lgkmcnt(0)
	global_store_b64 v[1:2], v[3:4], off
	s_branch .LBB0_2
.LBB0_29:
	s_nop 0
	s_sendmsg sendmsg(MSG_DEALLOC_VGPRS)
	s_endpgm
	.section	.rodata,"a",@progbits
	.p2align	6, 0x0
	.amdhsa_kernel _ZL11MPCcompressILi64EEviPlS0_PVih
		.amdhsa_group_segment_fixed_size 16392
		.amdhsa_private_segment_fixed_size 0
		.amdhsa_kernarg_size 296
		.amdhsa_user_sgpr_count 15
		.amdhsa_user_sgpr_dispatch_ptr 0
		.amdhsa_user_sgpr_queue_ptr 0
		.amdhsa_user_sgpr_kernarg_segment_ptr 1
		.amdhsa_user_sgpr_dispatch_id 0
		.amdhsa_user_sgpr_private_segment_size 0
		.amdhsa_wavefront_size32 1
		.amdhsa_uses_dynamic_stack 0
		.amdhsa_enable_private_segment 0
		.amdhsa_system_sgpr_workgroup_id_x 1
		.amdhsa_system_sgpr_workgroup_id_y 0
		.amdhsa_system_sgpr_workgroup_id_z 0
		.amdhsa_system_sgpr_workgroup_info 0
		.amdhsa_system_vgpr_workitem_id 0
		.amdhsa_next_free_vgpr 37
		.amdhsa_next_free_sgpr 34
		.amdhsa_reserve_vcc 1
		.amdhsa_float_round_mode_32 0
		.amdhsa_float_round_mode_16_64 0
		.amdhsa_float_denorm_mode_32 3
		.amdhsa_float_denorm_mode_16_64 3
		.amdhsa_dx10_clamp 1
		.amdhsa_ieee_mode 1
		.amdhsa_fp16_overflow 0
		.amdhsa_workgroup_processor_mode 1
		.amdhsa_memory_ordered 1
		.amdhsa_forward_progress 0
		.amdhsa_shared_vgpr_count 0
		.amdhsa_exception_fp_ieee_invalid_op 0
		.amdhsa_exception_fp_denorm_src 0
		.amdhsa_exception_fp_ieee_div_zero 0
		.amdhsa_exception_fp_ieee_overflow 0
		.amdhsa_exception_fp_ieee_underflow 0
		.amdhsa_exception_fp_ieee_inexact 0
		.amdhsa_exception_int_div_zero 0
	.end_amdhsa_kernel
	.section	.text._ZL11MPCcompressILi64EEviPlS0_PVih,"axG",@progbits,_ZL11MPCcompressILi64EEviPlS0_PVih,comdat
.Lfunc_end0:
	.size	_ZL11MPCcompressILi64EEviPlS0_PVih, .Lfunc_end0-_ZL11MPCcompressILi64EEviPlS0_PVih
                                        ; -- End function
	.section	.AMDGPU.csdata,"",@progbits
; Kernel info:
; codeLenInByte = 3732
; NumSgprs: 36
; NumVgprs: 37
; ScratchSize: 0
; MemoryBound: 0
; FloatMode: 240
; IeeeMode: 1
; LDSByteSize: 16392 bytes/workgroup (compile time only)
; SGPRBlocks: 4
; VGPRBlocks: 4
; NumSGPRsForWavesPerEU: 36
; NumVGPRsForWavesPerEU: 37
; Occupancy: 16
; WaveLimiterHint : 0
; COMPUTE_PGM_RSRC2:SCRATCH_EN: 0
; COMPUTE_PGM_RSRC2:USER_SGPR: 15
; COMPUTE_PGM_RSRC2:TRAP_HANDLER: 0
; COMPUTE_PGM_RSRC2:TGID_X_EN: 1
; COMPUTE_PGM_RSRC2:TGID_Y_EN: 0
; COMPUTE_PGM_RSRC2:TGID_Z_EN: 0
; COMPUTE_PGM_RSRC2:TIDIG_COMP_CNT: 0
	.section	.text._ZL11MPCcompressILi32EEviPlS0_PVih,"axG",@progbits,_ZL11MPCcompressILi32EEviPlS0_PVih,comdat
	.globl	_ZL11MPCcompressILi32EEviPlS0_PVih ; -- Begin function _ZL11MPCcompressILi32EEviPlS0_PVih
	.p2align	8
	.type	_ZL11MPCcompressILi32EEviPlS0_PVih,@function
_ZL11MPCcompressILi32EEviPlS0_PVih:     ; @_ZL11MPCcompressILi32EEviPlS0_PVih
; %bb.0:
	s_load_b32 s26, s[0:1], 0x0
	s_waitcnt lgkmcnt(0)
	s_add_i32 s2, s26, 0x3ff
	s_delay_alu instid0(SALU_CYCLE_1) | instskip(NEXT) | instid1(SALU_CYCLE_1)
	s_ashr_i32 s3, s2, 31
	s_lshr_b32 s3, s3, 22
	s_delay_alu instid0(SALU_CYCLE_1) | instskip(NEXT) | instid1(SALU_CYCLE_1)
	s_add_i32 s2, s2, s3
	s_ashr_i32 s27, s2, 10
	s_delay_alu instid0(SALU_CYCLE_1)
	s_cmp_ge_i32 s15, s27
	s_cbranch_scc1 .LBB1_31
; %bb.1:
	s_clause 0x3
	s_load_b32 s28, s[0:1], 0x28
	s_load_b32 s2, s[0:1], 0x20
	s_load_b128 s[16:19], s[0:1], 0x8
	s_load_b64 s[12:13], s[0:1], 0x18
	s_add_i32 s0, s26, 63
	v_mbcnt_lo_u32_b32 v2, -1, 0
	s_ashr_i32 s3, s0, 31
	s_add_i32 s1, s15, 1
	s_lshr_b32 s3, s3, 26
	s_add_i32 s29, s27, -1
	s_add_i32 s0, s0, s3
	v_add_nc_u32_e32 v4, -1, v2
	s_ashr_i32 s30, s0, 6
	v_add_nc_u32_e32 v5, -2, v2
	s_add_i32 s30, s30, 1
	v_add_nc_u32_e32 v6, -4, v2
	s_mov_b32 s14, s15
	v_dual_mov_b32 v30, -1 :: v_dual_and_b32 v1, 0x3c0, v0
	v_and_b32_e32 v15, 63, v0
	s_waitcnt lgkmcnt(0)
	s_cmp_lg_u32 s1, s28
	v_cmp_gt_i32_e64 s4, 0, v6
	s_cselect_b32 s24, s1, 0
	s_and_b32 s20, s2, 0xff
	v_cmp_gt_i32_e64 s2, 0, v4
	s_ashr_i32 s15, s15, 31
	v_subrev_nc_u32_e32 v3, s20, v0
	s_lshl_b64 s[22:23], s[14:15], 2
	v_dual_mov_b32 v9, 0 :: v_dual_lshlrev_b32 v16, 3, v0
	v_cndmask_b32_e64 v4, v4, v2, s2
	v_cmp_gt_i32_e64 s2, 0, v5
	s_add_u32 s22, s12, s22
	s_addc_u32 s23, s13, s23
	s_ashr_i32 s25, s24, 31
	v_lshlrev_b32_e32 v20, 2, v4
	v_add_nc_u32_e32 v4, -8, v2
	v_cndmask_b32_e64 v5, v5, v2, s2
	v_lshlrev_b32_e32 v19, 3, v3
	v_and_b32_e32 v3, 31, v0
	s_lshl_b64 s[24:25], s[24:25], 2
	v_cmp_gt_i32_e64 s5, 0, v4
	v_lshlrev_b32_e32 v21, 2, v5
	v_cndmask_b32_e64 v5, v6, v2, s4
	v_add_nc_u32_e32 v6, -16, v2
	s_add_u32 s24, s12, s24
	v_cndmask_b32_e64 v4, v4, v2, s5
	s_addc_u32 s25, s13, s25
	v_cmp_ne_u32_e32 vcc_lo, 0, v0
	v_cmp_gt_i32_e64 s5, 0, v6
	v_or_b32_e32 v17, 0x2000, v16
	v_lshlrev_b32_e32 v23, 2, v4
	v_lshrrev_b32_e32 v4, 3, v0
	v_add_nc_u32_e32 v18, -8, v16
	v_cndmask_b32_e64 v2, v6, v2, s5
	v_cmp_eq_u32_e64 s0, 32, v15
	v_cmp_gt_u32_e64 s1, s20, v0
	v_and_b32_e32 v25, 0x7c, v4
	v_cmp_ne_u32_e64 s2, 0, v15
	v_cmp_eq_u32_e64 s3, 0, v3
	v_cmp_lt_u32_e64 s4, 1, v3
	v_lshlrev_b32_e32 v22, 2, v5
	v_cmp_lt_u32_e64 s5, 3, v3
	v_cmp_lt_u32_e64 s6, 7, v3
	v_lshlrev_b32_e32 v24, 2, v2
	v_cmp_lt_u32_e64 s7, 15, v3
	v_cmp_eq_u32_e64 s8, 31, v3
	v_cmp_gt_u32_e64 s9, 32, v0
	v_cmp_lt_u32_e64 s10, 31, v0
	v_lshlrev_b32_e32 v26, 2, v3
	v_add_nc_u32_e32 v27, -4, v25
	v_cmp_eq_u32_e64 s11, 0x3ff, v0
	s_add_u32 s15, s20, 0x43504cff
	v_or_b32_e32 v28, 0x21f8, v16
	v_lshl_or_b32 v29, v1, 3, 0x2000
	s_addc_u32 s31, 0, 0
	s_add_u32 s33, s18, 8
	s_mov_b32 s21, 0
	s_addc_u32 s34, s19, 0
	s_branch .LBB1_3
.LBB1_2:                                ;   in Loop: Header=BB1_3 Depth=1
	s_or_b32 exec_lo, exec_lo, s13
	s_add_i32 s14, s14, s28
	s_delay_alu instid0(SALU_CYCLE_1)
	s_cmp_ge_i32 s14, s27
	s_cbranch_scc1 .LBB1_31
.LBB1_3:                                ; =>This Loop Header: Depth=1
                                        ;     Child Loop BB1_24 Depth 2
	v_lshl_or_b32 v10, s14, 10, v0
	v_mov_b32_e32 v1, 0
	v_mov_b32_e32 v2, 0
	s_mov_b32 s20, exec_lo
	s_delay_alu instid0(VALU_DEP_3)
	v_cmp_le_i32_e64 s12, s26, v10
	v_cmpx_gt_i32_e64 s26, v10
	s_cbranch_execz .LBB1_5
; %bb.4:                                ;   in Loop: Header=BB1_3 Depth=1
	v_ashrrev_i32_e32 v11, 31, v10
	s_delay_alu instid0(VALU_DEP_1) | instskip(NEXT) | instid1(VALU_DEP_1)
	v_lshlrev_b64 v[1:2], 3, v[10:11]
	v_add_co_u32 v1, s13, s16, v1
	s_delay_alu instid0(VALU_DEP_1)
	v_add_co_ci_u32_e64 v2, s13, s17, v2, s13
	global_load_b64 v[1:2], v[1:2], off
	s_waitcnt vmcnt(0)
	ds_store_b64 v16, v[1:2]
.LBB1_5:                                ;   in Loop: Header=BB1_3 Depth=1
	s_or_b32 exec_lo, exec_lo, s20
	s_delay_alu instid0(VALU_DEP_2)
	s_or_b32 s13, s1, s12
	s_waitcnt lgkmcnt(0)
	s_xor_b32 s13, s13, -1
	s_waitcnt_vscnt null, 0x0
	s_barrier
	buffer_gl0_inv
	s_and_saveexec_b32 s20, s13
	s_cbranch_execz .LBB1_7
; %bb.6:                                ;   in Loop: Header=BB1_3 Depth=1
	ds_load_b64 v[3:4], v19
	s_waitcnt lgkmcnt(0)
	v_sub_co_u32 v1, s13, v1, v3
	s_delay_alu instid0(VALU_DEP_1)
	v_sub_co_ci_u32_e64 v2, s13, v2, v4, s13
.LBB1_7:                                ;   in Loop: Header=BB1_3 Depth=1
	s_or_b32 exec_lo, exec_lo, s20
	ds_store_b64 v17, v[1:2]
	s_waitcnt lgkmcnt(0)
	s_barrier
	buffer_gl0_inv
	ds_load_b64 v[11:12], v28
	ds_load_b128 v[1:4], v29 offset:480
	ds_load_b64 v[13:14], v29 offset:496
	ds_load_b128 v[5:8], v29 offset:464
	ds_load_b128 v[31:34], v29
	s_waitcnt lgkmcnt(4)
	v_lshrrev_b64 v[11:12], v15, v[11:12]
	s_waitcnt lgkmcnt(3)
	v_lshrrev_b64 v[3:4], v15, v[3:4]
	v_lshrrev_b64 v[1:2], v15, v[1:2]
	s_waitcnt lgkmcnt(1)
	v_lshrrev_b64 v[7:8], v15, v[7:8]
	v_lshrrev_b64 v[5:6], v15, v[5:6]
	v_lshlrev_b32_e32 v11, 1, v11
	v_lshlrev_b32_e32 v12, 1, v3
	v_lshrrev_b64 v[3:4], v15, v[13:14]
	v_lshlrev_b32_e32 v2, 1, v7
	s_delay_alu instid0(VALU_DEP_4) | instskip(NEXT) | instid1(VALU_DEP_4)
	v_and_b32_e32 v4, 2, v11
	v_and_b32_e32 v8, 2, v12
	ds_load_b128 v[11:14], v29 offset:448
	v_and_b32_e32 v2, 2, v2
	v_and_or_b32 v3, v3, 1, v4
	s_delay_alu instid0(VALU_DEP_1) | instskip(NEXT) | instid1(VALU_DEP_1)
	v_lshl_or_b32 v3, v3, 2, v8
	v_and_or_b32 v1, v1, 1, v3
	s_delay_alu instid0(VALU_DEP_1)
	v_lshl_or_b32 v8, v1, 2, v2
	ds_load_b128 v[1:4], v29 offset:432
	s_waitcnt lgkmcnt(1)
	v_lshrrev_b64 v[6:7], v15, v[13:14]
	v_lshrrev_b64 v[11:12], v15, v[11:12]
	v_and_or_b32 v8, v5, 1, v8
	s_delay_alu instid0(VALU_DEP_3) | instskip(NEXT) | instid1(VALU_DEP_3)
	v_lshlrev_b32_e32 v5, 1, v6
	v_and_b32_e32 v11, 1, v11
	s_delay_alu instid0(VALU_DEP_3) | instskip(NEXT) | instid1(VALU_DEP_1)
	v_lshlrev_b64 v[12:13], 2, v[8:9]
	v_and_or_b32 v12, v5, 2, v12
	ds_load_b128 v[5:8], v29 offset:416
	s_waitcnt lgkmcnt(1)
	v_lshrrev_b64 v[3:4], v15, v[3:4]
	v_or_b32_e32 v12, v11, v12
	v_lshrrev_b64 v[1:2], v15, v[1:2]
	s_delay_alu instid0(VALU_DEP_2) | instskip(NEXT) | instid1(VALU_DEP_4)
	v_lshlrev_b64 v[11:12], 2, v[12:13]
	v_lshlrev_b32_e32 v2, 1, v3
	s_delay_alu instid0(VALU_DEP_3) | instskip(NEXT) | instid1(VALU_DEP_2)
	v_and_b32_e32 v13, 1, v1
	v_and_or_b32 v11, v2, 2, v11
	ds_load_b128 v[1:4], v29 offset:400
	s_waitcnt lgkmcnt(1)
	v_lshrrev_b64 v[7:8], v15, v[7:8]
	v_or_b32_e32 v11, v13, v11
	v_lshrrev_b64 v[5:6], v15, v[5:6]
	s_delay_alu instid0(VALU_DEP_2) | instskip(NEXT) | instid1(VALU_DEP_4)
	v_lshlrev_b64 v[11:12], 2, v[11:12]
	v_lshlrev_b32_e32 v6, 1, v7
	s_delay_alu instid0(VALU_DEP_3) | instskip(NEXT) | instid1(VALU_DEP_2)
	v_and_b32_e32 v13, 1, v5
	;; [unrolled: 11-line block ×22, first 2 shown]
	v_and_or_b32 v11, v6, 2, v11
	ds_load_b128 v[5:8], v29 offset:64
	s_waitcnt lgkmcnt(1)
	v_lshrrev_b64 v[3:4], v15, v[3:4]
	v_or_b32_e32 v11, v13, v11
	v_lshrrev_b64 v[13:14], v15, v[1:2]
	s_delay_alu instid0(VALU_DEP_2) | instskip(NEXT) | instid1(VALU_DEP_4)
	v_lshlrev_b64 v[11:12], 2, v[11:12]
	v_lshlrev_b32_e32 v14, 1, v3
	ds_load_b128 v[1:4], v29 offset:48
	v_and_b32_e32 v13, 1, v13
	v_and_or_b32 v11, v14, 2, v11
	s_waitcnt lgkmcnt(1)
	v_lshrrev_b64 v[7:8], v15, v[7:8]
	s_delay_alu instid0(VALU_DEP_2) | instskip(SKIP_1) | instid1(VALU_DEP_2)
	v_or_b32_e32 v11, v13, v11
	v_lshrrev_b64 v[13:14], v15, v[5:6]
	v_lshlrev_b64 v[11:12], 2, v[11:12]
	s_delay_alu instid0(VALU_DEP_4) | instskip(NEXT) | instid1(VALU_DEP_3)
	v_lshlrev_b32_e32 v14, 1, v7
	v_and_b32_e32 v13, 1, v13
	ds_load_b128 v[5:8], v29 offset:32
	v_and_or_b32 v11, v14, 2, v11
	s_waitcnt lgkmcnt(1)
	v_lshrrev_b64 v[3:4], v15, v[3:4]
	s_delay_alu instid0(VALU_DEP_2) | instskip(SKIP_1) | instid1(VALU_DEP_3)
	v_or_b32_e32 v11, v13, v11
	v_lshrrev_b64 v[13:14], v15, v[1:2]
	v_lshlrev_b32_e32 v14, 1, v3
	ds_load_b128 v[1:4], v29 offset:16
	v_lshlrev_b64 v[11:12], 2, v[11:12]
	v_and_b32_e32 v13, 1, v13
	s_delay_alu instid0(VALU_DEP_2) | instskip(SKIP_3) | instid1(VALU_DEP_3)
	v_and_or_b32 v11, v14, 2, v11
	s_waitcnt lgkmcnt(1)
	v_lshrrev_b64 v[7:8], v15, v[7:8]
	v_lshrrev_b64 v[5:6], v15, v[5:6]
	v_or_b32_e32 v11, v13, v11
	s_delay_alu instid0(VALU_DEP_3) | instskip(NEXT) | instid1(VALU_DEP_3)
	v_lshlrev_b32_e32 v6, 1, v7
	v_and_b32_e32 v5, 1, v5
	s_delay_alu instid0(VALU_DEP_3) | instskip(SKIP_3) | instid1(VALU_DEP_3)
	v_lshlrev_b64 v[11:12], 2, v[11:12]
	s_waitcnt lgkmcnt(0)
	v_lshrrev_b64 v[3:4], v15, v[3:4]
	v_lshrrev_b64 v[1:2], v15, v[1:2]
	v_and_or_b32 v6, v6, 2, v11
	s_delay_alu instid0(VALU_DEP_3) | instskip(NEXT) | instid1(VALU_DEP_3)
	v_lshlrev_b32_e32 v2, 1, v3
	v_and_b32_e32 v1, 1, v1
	s_delay_alu instid0(VALU_DEP_3) | instskip(SKIP_1) | instid1(VALU_DEP_2)
	v_or_b32_e32 v11, v5, v6
	v_lshrrev_b64 v[6:7], v15, v[31:32]
	v_lshlrev_b64 v[4:5], 2, v[11:12]
	s_delay_alu instid0(VALU_DEP_1) | instskip(SKIP_1) | instid1(VALU_DEP_2)
	v_and_or_b32 v2, v2, 2, v4
	v_lshrrev_b64 v[3:4], v15, v[33:34]
	v_or_b32_e32 v4, v1, v2
	s_delay_alu instid0(VALU_DEP_2) | instskip(NEXT) | instid1(VALU_DEP_2)
	v_lshlrev_b32_e32 v3, 1, v3
	v_lshlrev_b64 v[1:2], 2, v[4:5]
	v_and_b32_e32 v4, 1, v6
	s_delay_alu instid0(VALU_DEP_2) | instskip(NEXT) | instid1(VALU_DEP_1)
	v_and_or_b32 v1, v3, 2, v1
	v_or_b32_e32 v1, v4, v1
	ds_store_b64 v16, v[1:2]
	s_waitcnt lgkmcnt(0)
	s_barrier
	buffer_gl0_inv
	s_and_saveexec_b32 s20, vcc_lo
	s_cbranch_execz .LBB1_9
; %bb.8:                                ;   in Loop: Header=BB1_3 Depth=1
	ds_load_b64 v[3:4], v18
	s_waitcnt lgkmcnt(0)
	v_sub_co_u32 v1, s13, v1, v3
	s_delay_alu instid0(VALU_DEP_1)
	v_sub_co_ci_u32_e64 v2, s13, v2, v4, s13
.LBB1_9:                                ;   in Loop: Header=BB1_3 Depth=1
	s_or_b32 exec_lo, exec_lo, s20
	s_delay_alu instid0(VALU_DEP_1)
	v_cmp_ne_u64_e64 s20, 0, v[1:2]
	s_and_saveexec_b32 s13, s0
	s_cbranch_execz .LBB1_11
; %bb.10:                               ;   in Loop: Header=BB1_3 Depth=1
	s_delay_alu instid0(VALU_DEP_1)
	v_dual_mov_b32 v3, s20 :: v_dual_mov_b32 v4, s21
	ds_store_b64 v17, v[3:4]
.LBB1_11:                               ;   in Loop: Header=BB1_3 Depth=1
	s_or_b32 exec_lo, exec_lo, s13
	s_or_b32 s12, s2, s12
	s_waitcnt lgkmcnt(0)
	s_xor_b32 s12, s12, -1
	s_barrier
	buffer_gl0_inv
	s_and_saveexec_b32 s13, s12
	s_cbranch_execz .LBB1_13
; %bb.12:                               ;   in Loop: Header=BB1_3 Depth=1
	v_ashrrev_i32_e32 v3, 6, v10
	ds_load_b32 v5, v17 offset:256
	v_ashrrev_i32_e32 v4, 31, v3
	s_delay_alu instid0(VALU_DEP_1) | instskip(NEXT) | instid1(VALU_DEP_1)
	v_lshlrev_b64 v[3:4], 3, v[3:4]
	v_add_co_u32 v6, s12, s33, v3
	s_delay_alu instid0(VALU_DEP_1)
	v_add_co_ci_u32_e64 v7, s12, s34, v4, s12
	v_mov_b32_e32 v4, s20
	s_waitcnt lgkmcnt(0)
	global_store_b64 v[6:7], v[4:5], off
.LBB1_13:                               ;   in Loop: Header=BB1_3 Depth=1
	s_or_b32 exec_lo, exec_lo, s13
	v_cndmask_b32_e64 v3, 0, 1, s20
	ds_bpermute_b32 v4, v20, v3
	s_waitcnt lgkmcnt(0)
	v_cndmask_b32_e64 v4, v4, 0, s3
	s_delay_alu instid0(VALU_DEP_1) | instskip(SKIP_3) | instid1(VALU_DEP_1)
	v_add_nc_u32_e32 v4, v4, v3
	ds_bpermute_b32 v5, v21, v4
	s_waitcnt lgkmcnt(0)
	v_cndmask_b32_e64 v5, 0, v5, s4
	v_add_nc_u32_e32 v4, v4, v5
	ds_bpermute_b32 v5, v22, v4
	s_waitcnt lgkmcnt(0)
	v_cndmask_b32_e64 v5, 0, v5, s5
	s_delay_alu instid0(VALU_DEP_1) | instskip(SKIP_3) | instid1(VALU_DEP_1)
	v_add_nc_u32_e32 v4, v4, v5
	ds_bpermute_b32 v5, v23, v4
	s_waitcnt lgkmcnt(0)
	v_cndmask_b32_e64 v5, 0, v5, s6
	v_add_nc_u32_e32 v4, v4, v5
	ds_bpermute_b32 v5, v24, v4
	s_waitcnt lgkmcnt(0)
	v_cndmask_b32_e64 v5, 0, v5, s7
	s_delay_alu instid0(VALU_DEP_1)
	v_add_nc_u32_e32 v4, v4, v5
	s_and_saveexec_b32 s12, s8
	s_cbranch_execz .LBB1_15
; %bb.14:                               ;   in Loop: Header=BB1_3 Depth=1
	ds_store_b32 v25, v4
.LBB1_15:                               ;   in Loop: Header=BB1_3 Depth=1
	s_or_b32 exec_lo, exec_lo, s12
	s_waitcnt lgkmcnt(0)
	s_waitcnt_vscnt null, 0x0
	s_barrier
	buffer_gl0_inv
	s_and_saveexec_b32 s12, s9
	s_cbranch_execz .LBB1_17
; %bb.16:                               ;   in Loop: Header=BB1_3 Depth=1
	ds_load_b32 v5, v26
	s_waitcnt lgkmcnt(0)
	ds_bpermute_b32 v6, v20, v5
	s_waitcnt lgkmcnt(0)
	v_cndmask_b32_e64 v6, v6, 0, s3
	s_delay_alu instid0(VALU_DEP_1) | instskip(SKIP_3) | instid1(VALU_DEP_1)
	v_add_nc_u32_e32 v5, v6, v5
	ds_bpermute_b32 v6, v21, v5
	s_waitcnt lgkmcnt(0)
	v_cndmask_b32_e64 v6, 0, v6, s4
	v_add_nc_u32_e32 v5, v6, v5
	ds_bpermute_b32 v6, v22, v5
	s_waitcnt lgkmcnt(0)
	v_cndmask_b32_e64 v6, 0, v6, s5
	s_delay_alu instid0(VALU_DEP_1) | instskip(SKIP_3) | instid1(VALU_DEP_1)
	v_add_nc_u32_e32 v5, v6, v5
	ds_bpermute_b32 v6, v23, v5
	s_waitcnt lgkmcnt(0)
	v_cndmask_b32_e64 v6, 0, v6, s6
	v_add_nc_u32_e32 v5, v6, v5
	ds_bpermute_b32 v6, v24, v5
	s_waitcnt lgkmcnt(0)
	v_cndmask_b32_e64 v6, 0, v6, s7
	s_delay_alu instid0(VALU_DEP_1)
	v_add_nc_u32_e32 v5, v6, v5
	ds_store_b32 v26, v5
.LBB1_17:                               ;   in Loop: Header=BB1_3 Depth=1
	s_or_b32 exec_lo, exec_lo, s12
	v_cndmask_b32_e64 v3, v4, v3, s3
	s_waitcnt lgkmcnt(0)
	s_barrier
	buffer_gl0_inv
	s_and_saveexec_b32 s12, s10
	s_cbranch_execnz .LBB1_20
; %bb.18:                               ;   in Loop: Header=BB1_3 Depth=1
	s_or_b32 exec_lo, exec_lo, s12
	s_and_saveexec_b32 s12, s20
	s_cbranch_execnz .LBB1_21
.LBB1_19:                               ;   in Loop: Header=BB1_3 Depth=1
	s_or_b32 exec_lo, exec_lo, s12
	s_and_saveexec_b32 s13, s11
	s_cbranch_execnz .LBB1_22
	s_branch .LBB1_29
.LBB1_20:                               ;   in Loop: Header=BB1_3 Depth=1
	ds_load_b32 v4, v27
	s_waitcnt lgkmcnt(0)
	v_add_nc_u32_e32 v3, v4, v3
	s_or_b32 exec_lo, exec_lo, s12
	s_and_saveexec_b32 s12, s20
	s_cbranch_execz .LBB1_19
.LBB1_21:                               ;   in Loop: Header=BB1_3 Depth=1
	s_delay_alu instid0(VALU_DEP_1)
	v_lshlrev_b32_e32 v4, 3, v3
	ds_store_b64 v4, v[1:2] offset:8184
	s_or_b32 exec_lo, exec_lo, s12
	s_and_saveexec_b32 s13, s11
	s_cbranch_execz .LBB1_29
.LBB1_22:                               ;   in Loop: Header=BB1_3 Depth=1
	v_mov_b32_e32 v4, s30
	s_cmp_lt_i32 s14, 1
	s_cbranch_scc1 .LBB1_26
; %bb.23:                               ;   in Loop: Header=BB1_3 Depth=1
	s_mov_b32 s20, 0
.LBB1_24:                               ;   Parent Loop BB1_3 Depth=1
                                        ; =>  This Inner Loop Header: Depth=2
	v_dual_mov_b32 v1, s22 :: v_dual_mov_b32 v2, s23
	flat_load_b32 v4, v[1:2] glc dlc
	s_waitcnt vmcnt(0) lgkmcnt(0)
	v_cmp_lt_i32_e64 s12, -1, v4
	s_delay_alu instid0(VALU_DEP_1) | instskip(NEXT) | instid1(SALU_CYCLE_1)
	s_or_b32 s20, s12, s20
	s_and_not1_b32 exec_lo, exec_lo, s20
	s_cbranch_execnz .LBB1_24
; %bb.25:                               ;   in Loop: Header=BB1_3 Depth=1
	s_or_b32 exec_lo, exec_lo, s20
.LBB1_26:                               ;   in Loop: Header=BB1_3 Depth=1
	v_mov_b32_e32 v5, s24
	s_delay_alu instid0(VALU_DEP_2)
	v_dual_mov_b32 v6, s25 :: v_dual_add_nc_u32 v1, v4, v3
	v_dual_mov_b32 v7, s22 :: v_dual_mov_b32 v8, s23
	s_cmp_lg_u32 s14, s29
	flat_store_b32 v[5:6], v1 dlc
	s_waitcnt_vscnt null, 0x0
	flat_store_b32 v[7:8], v30 dlc
	s_waitcnt_vscnt null, 0x0
	s_cbranch_scc1 .LBB1_28
; %bb.27:                               ;   in Loop: Header=BB1_3 Depth=1
	v_or_b32_e32 v2, s31, v1
	v_mov_b32_e32 v1, s15
	global_store_b64 v9, v[1:2], s[18:19]
.LBB1_28:                               ;   in Loop: Header=BB1_3 Depth=1
	ds_store_b64 v9, v[3:4] offset:16384
.LBB1_29:                               ;   in Loop: Header=BB1_3 Depth=1
	s_or_b32 exec_lo, exec_lo, s13
	s_waitcnt lgkmcnt(0)
	s_waitcnt_vscnt null, 0x0
	s_barrier
	buffer_gl0_inv
	ds_load_b32 v1, v9 offset:16384
	s_mov_b32 s13, exec_lo
	s_waitcnt lgkmcnt(0)
	v_cmpx_lt_i32_e64 v0, v1
	s_cbranch_execz .LBB1_2
; %bb.30:                               ;   in Loop: Header=BB1_3 Depth=1
	ds_load_b32 v1, v9 offset:16388
	ds_load_b64 v[3:4], v17
	s_waitcnt lgkmcnt(1)
	v_add_nc_u32_e32 v1, v1, v0
	s_delay_alu instid0(VALU_DEP_1) | instskip(NEXT) | instid1(VALU_DEP_1)
	v_ashrrev_i32_e32 v2, 31, v1
	v_lshlrev_b64 v[1:2], 3, v[1:2]
	s_delay_alu instid0(VALU_DEP_1) | instskip(NEXT) | instid1(VALU_DEP_1)
	v_add_co_u32 v1, s12, s18, v1
	v_add_co_ci_u32_e64 v2, s12, s19, v2, s12
	s_waitcnt lgkmcnt(0)
	global_store_b64 v[1:2], v[3:4], off
	s_branch .LBB1_2
.LBB1_31:
	s_nop 0
	s_sendmsg sendmsg(MSG_DEALLOC_VGPRS)
	s_endpgm
	.section	.rodata,"a",@progbits
	.p2align	6, 0x0
	.amdhsa_kernel _ZL11MPCcompressILi32EEviPlS0_PVih
		.amdhsa_group_segment_fixed_size 16392
		.amdhsa_private_segment_fixed_size 0
		.amdhsa_kernarg_size 296
		.amdhsa_user_sgpr_count 15
		.amdhsa_user_sgpr_dispatch_ptr 0
		.amdhsa_user_sgpr_queue_ptr 0
		.amdhsa_user_sgpr_kernarg_segment_ptr 1
		.amdhsa_user_sgpr_dispatch_id 0
		.amdhsa_user_sgpr_private_segment_size 0
		.amdhsa_wavefront_size32 1
		.amdhsa_uses_dynamic_stack 0
		.amdhsa_enable_private_segment 0
		.amdhsa_system_sgpr_workgroup_id_x 1
		.amdhsa_system_sgpr_workgroup_id_y 0
		.amdhsa_system_sgpr_workgroup_id_z 0
		.amdhsa_system_sgpr_workgroup_info 0
		.amdhsa_system_vgpr_workitem_id 0
		.amdhsa_next_free_vgpr 35
		.amdhsa_next_free_sgpr 35
		.amdhsa_reserve_vcc 1
		.amdhsa_float_round_mode_32 0
		.amdhsa_float_round_mode_16_64 0
		.amdhsa_float_denorm_mode_32 3
		.amdhsa_float_denorm_mode_16_64 3
		.amdhsa_dx10_clamp 1
		.amdhsa_ieee_mode 1
		.amdhsa_fp16_overflow 0
		.amdhsa_workgroup_processor_mode 1
		.amdhsa_memory_ordered 1
		.amdhsa_forward_progress 0
		.amdhsa_shared_vgpr_count 0
		.amdhsa_exception_fp_ieee_invalid_op 0
		.amdhsa_exception_fp_denorm_src 0
		.amdhsa_exception_fp_ieee_div_zero 0
		.amdhsa_exception_fp_ieee_overflow 0
		.amdhsa_exception_fp_ieee_underflow 0
		.amdhsa_exception_fp_ieee_inexact 0
		.amdhsa_exception_int_div_zero 0
	.end_amdhsa_kernel
	.section	.text._ZL11MPCcompressILi32EEviPlS0_PVih,"axG",@progbits,_ZL11MPCcompressILi32EEviPlS0_PVih,comdat
.Lfunc_end1:
	.size	_ZL11MPCcompressILi32EEviPlS0_PVih, .Lfunc_end1-_ZL11MPCcompressILi32EEviPlS0_PVih
                                        ; -- End function
	.section	.AMDGPU.csdata,"",@progbits
; Kernel info:
; codeLenInByte = 3728
; NumSgprs: 37
; NumVgprs: 35
; ScratchSize: 0
; MemoryBound: 0
; FloatMode: 240
; IeeeMode: 1
; LDSByteSize: 16392 bytes/workgroup (compile time only)
; SGPRBlocks: 4
; VGPRBlocks: 4
; NumSGPRsForWavesPerEU: 37
; NumVGPRsForWavesPerEU: 35
; Occupancy: 16
; WaveLimiterHint : 0
; COMPUTE_PGM_RSRC2:SCRATCH_EN: 0
; COMPUTE_PGM_RSRC2:USER_SGPR: 15
; COMPUTE_PGM_RSRC2:TRAP_HANDLER: 0
; COMPUTE_PGM_RSRC2:TGID_X_EN: 1
; COMPUTE_PGM_RSRC2:TGID_Y_EN: 0
; COMPUTE_PGM_RSRC2:TGID_Z_EN: 0
; COMPUTE_PGM_RSRC2:TIDIG_COMP_CNT: 0
	.section	.text._ZL13MPCdecompressILi64EEvPlS0_PVi,"axG",@progbits,_ZL13MPCdecompressILi64EEvPlS0_PVi,comdat
	.globl	_ZL13MPCdecompressILi64EEvPlS0_PVi ; -- Begin function _ZL13MPCdecompressILi64EEvPlS0_PVi
	.p2align	8
	.type	_ZL13MPCdecompressILi64EEvPlS0_PVi,@function
_ZL13MPCdecompressILi64EEvPlS0_PVi:     ; @_ZL13MPCdecompressILi64EEvPlS0_PVi
; %bb.0:
	s_load_b64 s[20:21], s[0:1], 0x0
	s_waitcnt lgkmcnt(0)
	s_load_b64 s[12:13], s[20:21], 0x0
	s_waitcnt lgkmcnt(0)
	s_add_i32 s2, s13, 0x3ff
	s_delay_alu instid0(SALU_CYCLE_1) | instskip(NEXT) | instid1(SALU_CYCLE_1)
	s_ashr_i32 s3, s2, 31
	s_lshr_b32 s3, s3, 22
	s_delay_alu instid0(SALU_CYCLE_1) | instskip(NEXT) | instid1(SALU_CYCLE_1)
	s_add_i32 s2, s2, s3
	s_ashr_i32 s24, s2, 10
	s_delay_alu instid0(SALU_CYCLE_1)
	s_cmp_ge_i32 s15, s24
	s_cbranch_scc1 .LBB2_76
; %bb.1:
	s_clause 0x1
	s_load_b32 s25, s[0:1], 0x18
	s_load_b128 s[16:19], s[0:1], 0x8
	v_mbcnt_lo_u32_b32 v17, -1, 0
	s_add_i32 s0, s13, 63
	s_add_i32 s1, s13, -1
	s_ashr_i32 s2, s0, 31
	s_add_i32 s3, s15, 1
	v_add_nc_u32_e32 v2, -1, v17
	s_lshr_b32 s2, s2, 26
	v_dual_mov_b32 v34, -1 :: v_dual_add_nc_u32 v3, -2, v17
	s_add_i32 s0, s0, s2
	s_delay_alu instid0(VALU_DEP_2)
	v_cmp_gt_i32_e32 vcc_lo, 0, v2
	s_ashr_i32 s27, s0, 6
	s_or_b32 s26, s1, 63
	s_add_i32 s27, s27, 1
	v_dual_cndmask_b32 v2, v2, v17 :: v_dual_and_b32 v1, 0x3c0, v0
	v_cmp_gt_i32_e32 vcc_lo, 0, v3
	v_add_nc_u32_e32 v4, -4, v17
	s_waitcnt lgkmcnt(0)
	s_cmp_lg_u32 s3, s25
	v_dual_mov_b32 v9, 0 :: v_dual_and_b32 v16, 63, v0
	s_cselect_b32 s10, s3, 0
	s_and_b32 s28, s12, 31
	v_cmp_gt_i32_e64 s1, 0, v4
	s_add_i32 s28, s28, 1
	v_cvt_f32_u32_e32 v6, v0
	v_lshlrev_b32_e32 v18, 2, v2
	v_dual_cndmask_b32 v2, v3, v17 :: v_dual_lshlrev_b32 v25, 2, v16
	v_cvt_f32_ubyte0_e32 v3, s28
	v_cndmask_b32_e64 v4, v4, v17, s1
	s_mov_b32 s14, s15
	s_delay_alu instid0(VALU_DEP_3)
	v_lshlrev_b32_e32 v19, 2, v2
	v_add_nc_u32_e32 v2, -8, v17
	v_rcp_iflag_f32_e32 v5, v3
	v_lshlrev_b32_e32 v20, 2, v4
	v_add_nc_u32_e32 v4, -16, v17
	s_ashr_i32 s15, s15, 31
	v_cmp_gt_i32_e64 s2, 0, v2
	s_lshl_b64 s[22:23], s[14:15], 2
	v_mul_u32_u24_e32 v7, s28, v16
	v_cmp_gt_i32_e64 s3, 0, v4
	s_add_u32 s22, s18, s22
	v_cndmask_b32_e64 v2, v2, v17, s2
	v_mul_f32_e32 v5, v6, v5
	s_addc_u32 s23, s19, s23
	v_cndmask_b32_e64 v4, v4, v17, s3
	s_ashr_i32 s11, s10, 31
	v_lshlrev_b32_e32 v21, 2, v2
	v_trunc_f32_e32 v5, v5
	v_or_b32_e32 v2, 0xffffffe0, v17
	v_lshlrev_b32_e32 v22, 2, v4
	s_lshl_b64 s[30:31], s[10:11], 2
	v_cmp_eq_u32_e32 vcc_lo, 0, v16
	v_fma_f32 v4, -v5, v3, v6
	v_cvt_u32_f32_e32 v5, v5
	v_cmp_gt_i32_e64 s4, 0, v2
	v_add_nc_u32_e32 v6, s28, v16
	v_cmp_ne_u32_e64 s0, 0, v16
	v_cmp_ge_f32_e64 s5, |v4|, v3
	v_lshlrev_b32_e32 v4, 3, v0
	v_cndmask_b32_e64 v2, v2, v17, s4
	v_cmp_lt_u32_e64 s1, 1, v16
	v_cmp_lt_u32_e64 s2, 3, v16
	v_add_co_ci_u32_e64 v3, s5, 0, v5, s5
	s_delay_alu instid0(VALU_DEP_4) | instskip(SKIP_2) | instid1(VALU_DEP_4)
	v_lshlrev_b32_e32 v23, 2, v2
	v_lshrrev_b32_e32 v2, 6, v0
	v_cmp_lt_u32_e64 s3, 7, v16
	v_mul_lo_u32 v3, v3, s28
	v_cmp_lt_u32_e64 s4, 15, v16
	v_cmp_lt_u32_e64 s5, 31, v16
	v_lshlrev_b32_e32 v24, 2, v2
	v_lshlrev_b32_e32 v5, 3, v2
	v_cmp_gt_u32_e64 s11, s28, v2
	v_cmp_eq_u32_e64 s6, 63, v16
	v_cmp_gt_u32_e64 s7, 64, v0
	v_sub_nc_u32_e32 v3, v0, v3
	v_cmp_lt_u32_e64 s8, 63, v0
	v_add_nc_u32_e32 v26, -4, v24
	v_cmp_eq_u32_e64 s9, 0x3ff, v0
	s_add_u32 s18, s18, s30
	v_and_b32_e32 v3, 0x3ff, v3
	v_or_b32_e32 v27, 0x2000, v4
	v_add_nc_u32_e32 v28, -8, v5
	v_cmp_lt_u32_e64 s10, 63, v6
	v_lshl_add_u32 v29, v7, 3, v5
	v_mad_u32_u24 v3, v2, s28, v3
	v_or_b32_e32 v30, 0x21f8, v4
	v_lshl_or_b32 v31, v1, 3, 0x2000
	v_add_nc_u32_e32 v35, v24, v24
	s_addc_u32 s19, s19, s31
	v_subrev_nc_u32_e32 v2, s28, v3
	v_lshlrev_b32_e32 v32, 3, v3
	s_add_u32 s15, s20, 8
	s_addc_u32 s29, s21, 0
	s_delay_alu instid0(VALU_DEP_2)
	v_lshlrev_b32_e32 v33, 3, v2
	s_branch .LBB2_3
.LBB2_2:                                ;   in Loop: Header=BB2_3 Depth=1
	s_or_b32 exec_lo, exec_lo, s30
	s_add_i32 s14, s14, s25
	s_delay_alu instid0(SALU_CYCLE_1)
	s_cmp_ge_i32 s14, s24
	s_cbranch_scc1 .LBB2_76
.LBB2_3:                                ; =>This Loop Header: Depth=1
                                        ;     Child Loop BB2_14 Depth 2
                                        ;     Child Loop BB2_52 Depth 2
	v_lshl_or_b32 v10, s14, 10, v0
	v_mov_b32_e32 v5, 0
	s_mov_b32 s30, exec_lo
	s_delay_alu instid0(VALU_DEP_2)
	v_ashrrev_i32_e32 v11, 31, v10
	v_cmpx_ge_i32_e64 s26, v10
	s_cbranch_execz .LBB2_5
; %bb.4:                                ;   in Loop: Header=BB2_3 Depth=1
	s_delay_alu instid0(VALU_DEP_2) | instskip(NEXT) | instid1(VALU_DEP_1)
	v_lshrrev_b32_e32 v1, 26, v11
	v_add_nc_u32_e32 v1, v10, v1
	s_delay_alu instid0(VALU_DEP_1) | instskip(NEXT) | instid1(VALU_DEP_1)
	v_ashrrev_i32_e32 v1, 6, v1
	v_ashrrev_i32_e32 v2, 31, v1
	s_delay_alu instid0(VALU_DEP_1) | instskip(NEXT) | instid1(VALU_DEP_1)
	v_lshlrev_b64 v[1:2], 3, v[1:2]
	v_add_co_u32 v1, s12, s15, v1
	s_delay_alu instid0(VALU_DEP_1) | instskip(SKIP_3) | instid1(VALU_DEP_1)
	v_add_co_ci_u32_e64 v2, s12, s29, v2, s12
	global_load_b64 v[1:2], v[1:2], off
	s_waitcnt vmcnt(0)
	v_lshrrev_b64 v[1:2], v16, v[1:2]
	v_and_b32_e32 v5, 1, v1
.LBB2_5:                                ;   in Loop: Header=BB2_3 Depth=1
	s_or_b32 exec_lo, exec_lo, s30
	ds_bpermute_b32 v1, v18, v5
	s_waitcnt lgkmcnt(0)
	s_waitcnt_vscnt null, 0x0
	s_barrier
	buffer_gl0_inv
	v_cndmask_b32_e64 v1, v1, 0, vcc_lo
	s_delay_alu instid0(VALU_DEP_1) | instskip(SKIP_3) | instid1(VALU_DEP_1)
	v_add_nc_u32_e32 v1, v1, v5
	ds_bpermute_b32 v2, v19, v1
	s_waitcnt lgkmcnt(0)
	v_cndmask_b32_e64 v2, 0, v2, s1
	v_add_nc_u32_e32 v1, v1, v2
	ds_bpermute_b32 v2, v20, v1
	s_waitcnt lgkmcnt(0)
	v_cndmask_b32_e64 v2, 0, v2, s2
	s_delay_alu instid0(VALU_DEP_1) | instskip(SKIP_3) | instid1(VALU_DEP_1)
	v_add_nc_u32_e32 v1, v1, v2
	ds_bpermute_b32 v2, v21, v1
	s_waitcnt lgkmcnt(0)
	v_cndmask_b32_e64 v2, 0, v2, s3
	v_add_nc_u32_e32 v1, v1, v2
	ds_bpermute_b32 v2, v22, v1
	s_waitcnt lgkmcnt(0)
	v_cndmask_b32_e64 v2, 0, v2, s4
	s_delay_alu instid0(VALU_DEP_1) | instskip(SKIP_3) | instid1(VALU_DEP_1)
	v_add_nc_u32_e32 v1, v1, v2
	ds_bpermute_b32 v2, v23, v1
	s_waitcnt lgkmcnt(0)
	v_cndmask_b32_e64 v2, 0, v2, s5
	v_add_nc_u32_e32 v1, v1, v2
	s_and_saveexec_b32 s12, s6
	s_cbranch_execz .LBB2_7
; %bb.6:                                ;   in Loop: Header=BB2_3 Depth=1
	ds_store_b32 v24, v1
.LBB2_7:                                ;   in Loop: Header=BB2_3 Depth=1
	s_or_b32 exec_lo, exec_lo, s12
	s_waitcnt lgkmcnt(0)
	s_barrier
	buffer_gl0_inv
	s_and_saveexec_b32 s12, s7
	s_cbranch_execz .LBB2_9
; %bb.8:                                ;   in Loop: Header=BB2_3 Depth=1
	ds_load_b32 v2, v25
	s_waitcnt lgkmcnt(0)
	ds_bpermute_b32 v3, v18, v2
	s_waitcnt lgkmcnt(0)
	v_cndmask_b32_e64 v3, v3, 0, vcc_lo
	s_delay_alu instid0(VALU_DEP_1) | instskip(SKIP_3) | instid1(VALU_DEP_1)
	v_add_nc_u32_e32 v2, v3, v2
	ds_bpermute_b32 v3, v19, v2
	s_waitcnt lgkmcnt(0)
	v_cndmask_b32_e64 v3, 0, v3, s1
	v_add_nc_u32_e32 v2, v3, v2
	ds_bpermute_b32 v3, v20, v2
	s_waitcnt lgkmcnt(0)
	v_cndmask_b32_e64 v3, 0, v3, s2
	s_delay_alu instid0(VALU_DEP_1) | instskip(SKIP_3) | instid1(VALU_DEP_1)
	v_add_nc_u32_e32 v2, v3, v2
	ds_bpermute_b32 v3, v21, v2
	s_waitcnt lgkmcnt(0)
	v_cndmask_b32_e64 v3, 0, v3, s3
	v_add_nc_u32_e32 v2, v3, v2
	ds_bpermute_b32 v3, v22, v2
	s_waitcnt lgkmcnt(0)
	v_cndmask_b32_e64 v3, 0, v3, s4
	s_delay_alu instid0(VALU_DEP_1) | instskip(SKIP_3) | instid1(VALU_DEP_1)
	v_add_nc_u32_e32 v2, v3, v2
	ds_bpermute_b32 v3, v23, v2
	s_waitcnt lgkmcnt(0)
	v_cndmask_b32_e64 v3, 0, v3, s5
	v_add_nc_u32_e32 v2, v3, v2
	ds_store_b32 v25, v2
.LBB2_9:                                ;   in Loop: Header=BB2_3 Depth=1
	s_or_b32 exec_lo, exec_lo, s12
	v_cndmask_b32_e32 v3, v1, v5, vcc_lo
	s_waitcnt lgkmcnt(0)
	s_barrier
	buffer_gl0_inv
	s_and_saveexec_b32 s12, s8
	s_cbranch_execz .LBB2_11
; %bb.10:                               ;   in Loop: Header=BB2_3 Depth=1
	ds_load_b32 v1, v26
	s_waitcnt lgkmcnt(0)
	v_add_nc_u32_e32 v3, v1, v3
.LBB2_11:                               ;   in Loop: Header=BB2_3 Depth=1
	s_or_b32 exec_lo, exec_lo, s12
	s_and_saveexec_b32 s30, s9
	s_cbranch_execz .LBB2_17
; %bb.12:                               ;   in Loop: Header=BB2_3 Depth=1
	v_mov_b32_e32 v4, s27
	s_cmp_lt_i32 s14, 1
	s_cbranch_scc1 .LBB2_16
; %bb.13:                               ;   in Loop: Header=BB2_3 Depth=1
	s_mov_b32 s31, 0
.LBB2_14:                               ;   Parent Loop BB2_3 Depth=1
                                        ; =>  This Inner Loop Header: Depth=2
	v_dual_mov_b32 v1, s22 :: v_dual_mov_b32 v2, s23
	flat_load_b32 v4, v[1:2] glc dlc
	s_waitcnt vmcnt(0) lgkmcnt(0)
	v_cmp_lt_i32_e64 s12, -1, v4
	s_delay_alu instid0(VALU_DEP_1) | instskip(NEXT) | instid1(SALU_CYCLE_1)
	s_or_b32 s31, s12, s31
	s_and_not1_b32 exec_lo, exec_lo, s31
	s_cbranch_execnz .LBB2_14
; %bb.15:                               ;   in Loop: Header=BB2_3 Depth=1
	s_or_b32 exec_lo, exec_lo, s31
.LBB2_16:                               ;   in Loop: Header=BB2_3 Depth=1
	s_delay_alu instid0(VALU_DEP_1)
	v_dual_mov_b32 v1, s18 :: v_dual_add_nc_u32 v8, v4, v3
	v_mov_b32_e32 v2, s19
	v_dual_mov_b32 v6, s22 :: v_dual_mov_b32 v7, s23
	flat_store_b32 v[1:2], v8 dlc
	s_waitcnt_vscnt null, 0x0
	flat_store_b32 v[6:7], v34 dlc
	s_waitcnt_vscnt null, 0x0
	ds_store_b64 v9, v[3:4] offset:16384
.LBB2_17:                               ;   in Loop: Header=BB2_3 Depth=1
	s_or_b32 exec_lo, exec_lo, s30
	s_waitcnt lgkmcnt(0)
	s_barrier
	buffer_gl0_inv
	ds_load_b32 v1, v9 offset:16384
	s_mov_b32 s30, exec_lo
	s_waitcnt lgkmcnt(0)
	v_cmpx_lt_i32_e64 v0, v1
	s_cbranch_execz .LBB2_19
; %bb.18:                               ;   in Loop: Header=BB2_3 Depth=1
	ds_load_b32 v1, v9 offset:16388
	s_waitcnt lgkmcnt(0)
	v_add_nc_u32_e32 v1, v1, v0
	s_delay_alu instid0(VALU_DEP_1) | instskip(NEXT) | instid1(VALU_DEP_1)
	v_ashrrev_i32_e32 v2, 31, v1
	v_lshlrev_b64 v[1:2], 3, v[1:2]
	s_delay_alu instid0(VALU_DEP_1) | instskip(NEXT) | instid1(VALU_DEP_1)
	v_add_co_u32 v1, s12, s20, v1
	v_add_co_ci_u32_e64 v2, s12, s21, v2, s12
	global_load_b64 v[1:2], v[1:2], off
	s_waitcnt vmcnt(0)
	ds_store_b64 v27, v[1:2]
.LBB2_19:                               ;   in Loop: Header=BB2_3 Depth=1
	s_or_b32 exec_lo, exec_lo, s30
	v_mov_b32_e32 v1, 0
	v_mov_b32_e32 v2, 0
	s_mov_b32 s30, exec_lo
	s_waitcnt lgkmcnt(0)
	s_barrier
	buffer_gl0_inv
	v_cmpx_ne_u32_e32 0, v5
	s_cbranch_execz .LBB2_21
; %bb.20:                               ;   in Loop: Header=BB2_3 Depth=1
	v_lshlrev_b32_e32 v1, 3, v3
	ds_load_b64 v[1:2], v1 offset:8184
.LBB2_21:                               ;   in Loop: Header=BB2_3 Depth=1
	s_or_b32 exec_lo, exec_lo, s30
	s_waitcnt lgkmcnt(0)
	ds_bpermute_b32 v5, v18, v1
	ds_bpermute_b32 v4, v18, v2
	v_mov_b32_e32 v3, v1
	s_and_saveexec_b32 s30, s0
	s_cbranch_execz .LBB2_23
; %bb.22:                               ;   in Loop: Header=BB2_3 Depth=1
	s_waitcnt lgkmcnt(1)
	v_add_co_u32 v3, s12, v1, v5
	s_delay_alu instid0(VALU_DEP_1) | instskip(NEXT) | instid1(VALU_DEP_2)
	v_add_co_ci_u32_e64 v2, s12, 0, v2, s12
	v_add_co_u32 v1, s12, 0, v3
	s_waitcnt lgkmcnt(0)
	s_delay_alu instid0(VALU_DEP_2)
	v_add_co_ci_u32_e64 v2, s12, v4, v2, s12
.LBB2_23:                               ;   in Loop: Header=BB2_3 Depth=1
	s_or_b32 exec_lo, exec_lo, s30
	s_waitcnt lgkmcnt(1)
	ds_bpermute_b32 v5, v19, v3
	s_waitcnt lgkmcnt(1)
	ds_bpermute_b32 v4, v19, v2
	s_and_saveexec_b32 s30, s1
	s_cbranch_execz .LBB2_25
; %bb.24:                               ;   in Loop: Header=BB2_3 Depth=1
	s_waitcnt lgkmcnt(1)
	v_add_co_u32 v3, s12, v1, v5
	s_delay_alu instid0(VALU_DEP_1) | instskip(NEXT) | instid1(VALU_DEP_2)
	v_add_co_ci_u32_e64 v2, s12, 0, v2, s12
	v_add_co_u32 v1, s12, 0, v3
	s_waitcnt lgkmcnt(0)
	s_delay_alu instid0(VALU_DEP_2)
	v_add_co_ci_u32_e64 v2, s12, v4, v2, s12
.LBB2_25:                               ;   in Loop: Header=BB2_3 Depth=1
	s_or_b32 exec_lo, exec_lo, s30
	s_waitcnt lgkmcnt(1)
	ds_bpermute_b32 v5, v20, v3
	s_waitcnt lgkmcnt(1)
	ds_bpermute_b32 v4, v20, v2
	;; [unrolled: 17-line block ×4, first 2 shown]
	s_and_saveexec_b32 s30, s4
	s_cbranch_execz .LBB2_31
; %bb.30:                               ;   in Loop: Header=BB2_3 Depth=1
	s_waitcnt lgkmcnt(1)
	v_add_co_u32 v3, s12, v1, v5
	s_delay_alu instid0(VALU_DEP_1) | instskip(NEXT) | instid1(VALU_DEP_2)
	v_add_co_ci_u32_e64 v2, s12, 0, v2, s12
	v_add_co_u32 v1, s12, 0, v3
	s_waitcnt lgkmcnt(0)
	s_delay_alu instid0(VALU_DEP_2)
	v_add_co_ci_u32_e64 v2, s12, v4, v2, s12
.LBB2_31:                               ;   in Loop: Header=BB2_3 Depth=1
	s_or_b32 exec_lo, exec_lo, s30
	s_waitcnt lgkmcnt(0)
	ds_bpermute_b32 v4, v23, v3
	ds_bpermute_b32 v3, v23, v2
	s_and_saveexec_b32 s30, s5
	s_cbranch_execz .LBB2_33
; %bb.32:                               ;   in Loop: Header=BB2_3 Depth=1
	s_waitcnt lgkmcnt(1)
	v_add_co_u32 v1, s12, v1, v4
	s_delay_alu instid0(VALU_DEP_1) | instskip(NEXT) | instid1(VALU_DEP_2)
	v_add_co_ci_u32_e64 v2, s12, 0, v2, s12
	v_add_co_u32 v1, s12, v1, 0
	s_waitcnt lgkmcnt(0)
	s_delay_alu instid0(VALU_DEP_2)
	v_add_co_ci_u32_e64 v2, s12, v2, v3, s12
.LBB2_33:                               ;   in Loop: Header=BB2_3 Depth=1
	s_or_b32 exec_lo, exec_lo, s30
	s_and_saveexec_b32 s12, s6
	s_cbranch_execz .LBB2_35
; %bb.34:                               ;   in Loop: Header=BB2_3 Depth=1
	ds_store_b64 v35, v[1:2]
.LBB2_35:                               ;   in Loop: Header=BB2_3 Depth=1
	s_or_b32 exec_lo, exec_lo, s12
	s_waitcnt lgkmcnt(0)
	s_barrier
	buffer_gl0_inv
	s_and_saveexec_b32 s30, s7
	s_cbranch_execz .LBB2_49
; %bb.36:                               ;   in Loop: Header=BB2_3 Depth=1
	v_add_nc_u32_e32 v5, v25, v25
	ds_load_b64 v[3:4], v5
	s_waitcnt lgkmcnt(0)
	v_mov_b32_e32 v6, v3
	ds_bpermute_b32 v8, v18, v3
	ds_bpermute_b32 v7, v18, v4
	s_and_saveexec_b32 s31, s0
	s_cbranch_execz .LBB2_38
; %bb.37:                               ;   in Loop: Header=BB2_3 Depth=1
	s_waitcnt lgkmcnt(1)
	v_add_co_u32 v6, s12, v3, v8
	s_delay_alu instid0(VALU_DEP_1) | instskip(NEXT) | instid1(VALU_DEP_2)
	v_add_co_ci_u32_e64 v4, s12, 0, v4, s12
	v_add_co_u32 v3, s12, 0, v6
	s_waitcnt lgkmcnt(0)
	s_delay_alu instid0(VALU_DEP_2)
	v_add_co_ci_u32_e64 v4, s12, v7, v4, s12
.LBB2_38:                               ;   in Loop: Header=BB2_3 Depth=1
	s_or_b32 exec_lo, exec_lo, s31
	s_waitcnt lgkmcnt(1)
	ds_bpermute_b32 v8, v19, v6
	s_waitcnt lgkmcnt(1)
	ds_bpermute_b32 v7, v19, v4
	s_and_saveexec_b32 s31, s1
	s_cbranch_execz .LBB2_40
; %bb.39:                               ;   in Loop: Header=BB2_3 Depth=1
	s_waitcnt lgkmcnt(1)
	v_add_co_u32 v6, s12, v3, v8
	s_delay_alu instid0(VALU_DEP_1) | instskip(NEXT) | instid1(VALU_DEP_2)
	v_add_co_ci_u32_e64 v4, s12, 0, v4, s12
	v_add_co_u32 v3, s12, 0, v6
	s_waitcnt lgkmcnt(0)
	s_delay_alu instid0(VALU_DEP_2)
	v_add_co_ci_u32_e64 v4, s12, v7, v4, s12
.LBB2_40:                               ;   in Loop: Header=BB2_3 Depth=1
	s_or_b32 exec_lo, exec_lo, s31
	s_waitcnt lgkmcnt(1)
	ds_bpermute_b32 v8, v20, v6
	s_waitcnt lgkmcnt(1)
	;; [unrolled: 17-line block ×4, first 2 shown]
	ds_bpermute_b32 v7, v22, v4
	s_and_saveexec_b32 s31, s4
	s_cbranch_execz .LBB2_46
; %bb.45:                               ;   in Loop: Header=BB2_3 Depth=1
	s_waitcnt lgkmcnt(1)
	v_add_co_u32 v6, s12, v3, v8
	s_delay_alu instid0(VALU_DEP_1) | instskip(NEXT) | instid1(VALU_DEP_2)
	v_add_co_ci_u32_e64 v4, s12, 0, v4, s12
	v_add_co_u32 v3, s12, 0, v6
	s_waitcnt lgkmcnt(0)
	s_delay_alu instid0(VALU_DEP_2)
	v_add_co_ci_u32_e64 v4, s12, v7, v4, s12
.LBB2_46:                               ;   in Loop: Header=BB2_3 Depth=1
	s_or_b32 exec_lo, exec_lo, s31
	s_waitcnt lgkmcnt(0)
	ds_bpermute_b32 v7, v23, v6
	ds_bpermute_b32 v6, v23, v4
	s_and_saveexec_b32 s31, s5
	s_cbranch_execz .LBB2_48
; %bb.47:                               ;   in Loop: Header=BB2_3 Depth=1
	s_waitcnt lgkmcnt(1)
	v_add_co_u32 v3, s12, v3, v7
	s_delay_alu instid0(VALU_DEP_1) | instskip(NEXT) | instid1(VALU_DEP_2)
	v_add_co_ci_u32_e64 v4, s12, 0, v4, s12
	v_add_co_u32 v3, s12, v3, 0
	s_waitcnt lgkmcnt(0)
	s_delay_alu instid0(VALU_DEP_2)
	v_add_co_ci_u32_e64 v4, s12, v4, v6, s12
.LBB2_48:                               ;   in Loop: Header=BB2_3 Depth=1
	s_or_b32 exec_lo, exec_lo, s31
	ds_store_b64 v5, v[3:4]
.LBB2_49:                               ;   in Loop: Header=BB2_3 Depth=1
	s_or_b32 exec_lo, exec_lo, s30
	s_waitcnt lgkmcnt(0)
	s_barrier
	buffer_gl0_inv
	s_and_saveexec_b32 s30, s8
	s_cbranch_execz .LBB2_51
; %bb.50:                               ;   in Loop: Header=BB2_3 Depth=1
	ds_load_b64 v[3:4], v28
	s_waitcnt lgkmcnt(0)
	v_add_co_u32 v1, s12, v3, v1
	s_delay_alu instid0(VALU_DEP_1)
	v_add_co_ci_u32_e64 v2, s12, v4, v2, s12
.LBB2_51:                               ;   in Loop: Header=BB2_3 Depth=1
	s_or_b32 exec_lo, exec_lo, s30
	ds_store_b64 v27, v[1:2]
	s_waitcnt lgkmcnt(0)
	s_barrier
	buffer_gl0_inv
	ds_load_b64 v[12:13], v30
	ds_load_b128 v[1:4], v31 offset:480
	ds_load_b64 v[14:15], v31 offset:496
	ds_load_b128 v[5:8], v31 offset:464
	ds_load_b128 v[36:39], v31
	s_mov_b32 s30, s28
	s_waitcnt lgkmcnt(4)
	v_lshrrev_b64 v[12:13], v16, v[12:13]
	s_waitcnt lgkmcnt(3)
	v_lshrrev_b64 v[3:4], v16, v[3:4]
	v_lshrrev_b64 v[1:2], v16, v[1:2]
	s_waitcnt lgkmcnt(1)
	v_lshrrev_b64 v[7:8], v16, v[7:8]
	v_lshrrev_b64 v[5:6], v16, v[5:6]
	v_lshlrev_b32_e32 v12, 1, v12
	v_lshlrev_b32_e32 v13, 1, v3
	v_lshrrev_b64 v[3:4], v16, v[14:15]
	v_lshlrev_b32_e32 v2, 1, v7
	s_delay_alu instid0(VALU_DEP_4) | instskip(NEXT) | instid1(VALU_DEP_4)
	v_and_b32_e32 v4, 2, v12
	v_and_b32_e32 v8, 2, v13
	ds_load_b128 v[12:15], v31 offset:448
	v_and_b32_e32 v2, 2, v2
	v_and_or_b32 v3, v3, 1, v4
	s_delay_alu instid0(VALU_DEP_1) | instskip(NEXT) | instid1(VALU_DEP_1)
	v_lshl_or_b32 v3, v3, 2, v8
	v_and_or_b32 v1, v1, 1, v3
	s_delay_alu instid0(VALU_DEP_1)
	v_lshl_or_b32 v8, v1, 2, v2
	ds_load_b128 v[1:4], v31 offset:432
	s_waitcnt lgkmcnt(1)
	v_lshrrev_b64 v[6:7], v16, v[14:15]
	v_lshrrev_b64 v[12:13], v16, v[12:13]
	v_and_or_b32 v8, v5, 1, v8
	s_delay_alu instid0(VALU_DEP_3) | instskip(NEXT) | instid1(VALU_DEP_3)
	v_lshlrev_b32_e32 v5, 1, v6
	v_and_b32_e32 v12, 1, v12
	s_delay_alu instid0(VALU_DEP_3) | instskip(NEXT) | instid1(VALU_DEP_1)
	v_lshlrev_b64 v[13:14], 2, v[8:9]
	v_and_or_b32 v13, v5, 2, v13
	ds_load_b128 v[5:8], v31 offset:416
	s_waitcnt lgkmcnt(1)
	v_lshrrev_b64 v[3:4], v16, v[3:4]
	v_or_b32_e32 v13, v12, v13
	v_lshrrev_b64 v[1:2], v16, v[1:2]
	s_delay_alu instid0(VALU_DEP_2) | instskip(NEXT) | instid1(VALU_DEP_4)
	v_lshlrev_b64 v[12:13], 2, v[13:14]
	v_lshlrev_b32_e32 v2, 1, v3
	s_delay_alu instid0(VALU_DEP_3) | instskip(NEXT) | instid1(VALU_DEP_2)
	v_and_b32_e32 v14, 1, v1
	v_and_or_b32 v12, v2, 2, v12
	ds_load_b128 v[1:4], v31 offset:400
	s_waitcnt lgkmcnt(1)
	v_lshrrev_b64 v[7:8], v16, v[7:8]
	v_or_b32_e32 v12, v14, v12
	v_lshrrev_b64 v[5:6], v16, v[5:6]
	s_delay_alu instid0(VALU_DEP_2) | instskip(NEXT) | instid1(VALU_DEP_4)
	v_lshlrev_b64 v[12:13], 2, v[12:13]
	v_lshlrev_b32_e32 v6, 1, v7
	s_delay_alu instid0(VALU_DEP_3) | instskip(NEXT) | instid1(VALU_DEP_2)
	v_and_b32_e32 v14, 1, v5
	;; [unrolled: 11-line block ×24, first 2 shown]
	v_and_or_b32 v12, v6, 2, v12
	ds_load_b128 v[5:8], v31 offset:32
	s_waitcnt lgkmcnt(1)
	v_lshrrev_b64 v[3:4], v16, v[3:4]
	v_or_b32_e32 v12, v14, v12
	v_lshrrev_b64 v[14:15], v16, v[1:2]
	s_delay_alu instid0(VALU_DEP_2) | instskip(NEXT) | instid1(VALU_DEP_4)
	v_lshlrev_b64 v[12:13], 2, v[12:13]
	v_lshlrev_b32_e32 v15, 1, v3
	ds_load_b128 v[1:4], v31 offset:16
	v_and_b32_e32 v14, 1, v14
	v_and_or_b32 v12, v15, 2, v12
	s_waitcnt lgkmcnt(1)
	v_lshrrev_b64 v[7:8], v16, v[7:8]
	s_delay_alu instid0(VALU_DEP_2) | instskip(SKIP_1) | instid1(VALU_DEP_2)
	v_or_b32_e32 v12, v14, v12
	v_lshrrev_b64 v[5:6], v16, v[5:6]
	v_lshlrev_b64 v[12:13], 2, v[12:13]
	s_delay_alu instid0(VALU_DEP_4) | instskip(NEXT) | instid1(VALU_DEP_3)
	v_lshlrev_b32_e32 v6, 1, v7
	v_and_b32_e32 v5, 1, v5
	s_delay_alu instid0(VALU_DEP_2) | instskip(SKIP_3) | instid1(VALU_DEP_3)
	v_and_or_b32 v6, v6, 2, v12
	s_waitcnt lgkmcnt(0)
	v_lshrrev_b64 v[3:4], v16, v[3:4]
	v_lshrrev_b64 v[1:2], v16, v[1:2]
	v_or_b32_e32 v12, v5, v6
	v_lshrrev_b64 v[6:7], v16, v[36:37]
	s_delay_alu instid0(VALU_DEP_4) | instskip(NEXT) | instid1(VALU_DEP_4)
	v_lshlrev_b32_e32 v2, 1, v3
	v_and_b32_e32 v1, 1, v1
	s_delay_alu instid0(VALU_DEP_4) | instskip(NEXT) | instid1(VALU_DEP_1)
	v_lshlrev_b64 v[4:5], 2, v[12:13]
	v_and_or_b32 v2, v2, 2, v4
	v_lshrrev_b64 v[3:4], v16, v[38:39]
	s_delay_alu instid0(VALU_DEP_2) | instskip(NEXT) | instid1(VALU_DEP_2)
	v_or_b32_e32 v4, v1, v2
	v_lshlrev_b32_e32 v3, 1, v3
	s_delay_alu instid0(VALU_DEP_2) | instskip(NEXT) | instid1(VALU_DEP_1)
	v_lshlrev_b64 v[1:2], 2, v[4:5]
	v_and_or_b32 v1, v3, 2, v1
	v_and_b32_e32 v3, 1, v6
	s_delay_alu instid0(VALU_DEP_1)
	v_or_b32_e32 v1, v3, v1
	.p2align	6
.LBB2_52:                               ;   Parent Loop BB2_3 Depth=1
                                        ; =>  This Inner Loop Header: Depth=2
	s_waitcnt lgkmcnt(0)
	v_subrev_nc_u32_e32 v3, s30, v17
	s_mov_b32 s31, exec_lo
	s_delay_alu instid0(VALU_DEP_1) | instskip(NEXT) | instid1(VALU_DEP_1)
	v_cmp_gt_i32_e64 s12, 0, v3
	v_cndmask_b32_e64 v3, v3, v17, s12
	s_delay_alu instid0(VALU_DEP_1)
	v_lshlrev_b32_e32 v3, 2, v3
	ds_bpermute_b32 v4, v3, v1
	ds_bpermute_b32 v3, v3, v2
	v_cmpx_le_u32_e64 s30, v16
	s_cbranch_execz .LBB2_54
; %bb.53:                               ;   in Loop: Header=BB2_52 Depth=2
	s_waitcnt lgkmcnt(1)
	v_add_co_u32 v1, s12, v1, v4
	s_delay_alu instid0(VALU_DEP_1) | instskip(NEXT) | instid1(VALU_DEP_2)
	v_add_co_ci_u32_e64 v2, s12, 0, v2, s12
	v_add_co_u32 v1, s12, v1, 0
	s_waitcnt lgkmcnt(0)
	s_delay_alu instid0(VALU_DEP_2)
	v_add_co_ci_u32_e64 v2, s12, v2, v3, s12
.LBB2_54:                               ;   in Loop: Header=BB2_52 Depth=2
	s_or_b32 exec_lo, exec_lo, s31
	s_lshl_b32 s12, s30, 1
	s_cmp_gt_u32 s30, 31
	s_cbranch_scc1 .LBB2_56
; %bb.55:                               ;   in Loop: Header=BB2_52 Depth=2
	s_mov_b32 s30, s12
	s_branch .LBB2_52
.LBB2_56:                               ;   in Loop: Header=BB2_3 Depth=1
	s_and_saveexec_b32 s12, s10
	s_cbranch_execz .LBB2_58
; %bb.57:                               ;   in Loop: Header=BB2_3 Depth=1
	ds_store_b64 v32, v[1:2]
.LBB2_58:                               ;   in Loop: Header=BB2_3 Depth=1
	s_or_b32 exec_lo, exec_lo, s12
	s_waitcnt lgkmcnt(0)
	s_barrier
	buffer_gl0_inv
	s_and_saveexec_b32 s30, s11
	s_cbranch_execz .LBB2_72
; %bb.59:                               ;   in Loop: Header=BB2_3 Depth=1
	ds_load_b64 v[3:4], v29
	s_waitcnt lgkmcnt(0)
	ds_bpermute_b32 v7, v18, v3
	ds_bpermute_b32 v6, v18, v4
	v_mov_b32_e32 v5, v3
	s_and_saveexec_b32 s31, s0
	s_cbranch_execz .LBB2_61
; %bb.60:                               ;   in Loop: Header=BB2_3 Depth=1
	s_waitcnt lgkmcnt(1)
	v_add_co_u32 v5, s12, v3, v7
	s_delay_alu instid0(VALU_DEP_1) | instskip(NEXT) | instid1(VALU_DEP_2)
	v_add_co_ci_u32_e64 v4, s12, 0, v4, s12
	v_add_co_u32 v3, s12, 0, v5
	s_waitcnt lgkmcnt(0)
	s_delay_alu instid0(VALU_DEP_2)
	v_add_co_ci_u32_e64 v4, s12, v6, v4, s12
.LBB2_61:                               ;   in Loop: Header=BB2_3 Depth=1
	s_or_b32 exec_lo, exec_lo, s31
	s_waitcnt lgkmcnt(1)
	ds_bpermute_b32 v7, v19, v5
	s_waitcnt lgkmcnt(1)
	ds_bpermute_b32 v6, v19, v4
	s_and_saveexec_b32 s31, s1
	s_cbranch_execz .LBB2_63
; %bb.62:                               ;   in Loop: Header=BB2_3 Depth=1
	s_waitcnt lgkmcnt(1)
	v_add_co_u32 v5, s12, v3, v7
	s_delay_alu instid0(VALU_DEP_1) | instskip(NEXT) | instid1(VALU_DEP_2)
	v_add_co_ci_u32_e64 v4, s12, 0, v4, s12
	v_add_co_u32 v3, s12, 0, v5
	s_waitcnt lgkmcnt(0)
	s_delay_alu instid0(VALU_DEP_2)
	v_add_co_ci_u32_e64 v4, s12, v6, v4, s12
.LBB2_63:                               ;   in Loop: Header=BB2_3 Depth=1
	s_or_b32 exec_lo, exec_lo, s31
	s_waitcnt lgkmcnt(1)
	ds_bpermute_b32 v7, v20, v5
	s_waitcnt lgkmcnt(1)
	ds_bpermute_b32 v6, v20, v4
	;; [unrolled: 17-line block ×4, first 2 shown]
	s_and_saveexec_b32 s31, s4
	s_cbranch_execz .LBB2_69
; %bb.68:                               ;   in Loop: Header=BB2_3 Depth=1
	s_waitcnt lgkmcnt(1)
	v_add_co_u32 v5, s12, v3, v7
	s_delay_alu instid0(VALU_DEP_1) | instskip(NEXT) | instid1(VALU_DEP_2)
	v_add_co_ci_u32_e64 v4, s12, 0, v4, s12
	v_add_co_u32 v3, s12, 0, v5
	s_waitcnt lgkmcnt(0)
	s_delay_alu instid0(VALU_DEP_2)
	v_add_co_ci_u32_e64 v4, s12, v6, v4, s12
.LBB2_69:                               ;   in Loop: Header=BB2_3 Depth=1
	s_or_b32 exec_lo, exec_lo, s31
	s_waitcnt lgkmcnt(0)
	ds_bpermute_b32 v6, v23, v5
	ds_bpermute_b32 v5, v23, v4
	s_and_saveexec_b32 s31, s5
	s_cbranch_execz .LBB2_71
; %bb.70:                               ;   in Loop: Header=BB2_3 Depth=1
	s_waitcnt lgkmcnt(1)
	v_add_co_u32 v3, s12, v3, v6
	s_delay_alu instid0(VALU_DEP_1) | instskip(NEXT) | instid1(VALU_DEP_2)
	v_add_co_ci_u32_e64 v4, s12, 0, v4, s12
	v_add_co_u32 v3, s12, v3, 0
	s_waitcnt lgkmcnt(0)
	s_delay_alu instid0(VALU_DEP_2)
	v_add_co_ci_u32_e64 v4, s12, v4, v5, s12
.LBB2_71:                               ;   in Loop: Header=BB2_3 Depth=1
	s_or_b32 exec_lo, exec_lo, s31
	ds_store_b64 v29, v[3:4]
.LBB2_72:                               ;   in Loop: Header=BB2_3 Depth=1
	s_or_b32 exec_lo, exec_lo, s30
	s_waitcnt lgkmcnt(0)
	s_barrier
	buffer_gl0_inv
	s_and_saveexec_b32 s30, s8
	s_cbranch_execnz .LBB2_74
; %bb.73:                               ;   in Loop: Header=BB2_3 Depth=1
	s_or_b32 exec_lo, exec_lo, s30
	s_delay_alu instid0(SALU_CYCLE_1)
	s_mov_b32 s30, exec_lo
	v_cmpx_gt_i32_e64 s13, v10
	s_cbranch_execz .LBB2_2
	s_branch .LBB2_75
.LBB2_74:                               ;   in Loop: Header=BB2_3 Depth=1
	ds_load_b64 v[3:4], v33
	s_waitcnt lgkmcnt(0)
	v_add_co_u32 v1, s12, v3, v1
	s_delay_alu instid0(VALU_DEP_1) | instskip(SKIP_1) | instid1(SALU_CYCLE_1)
	v_add_co_ci_u32_e64 v2, s12, v4, v2, s12
	s_or_b32 exec_lo, exec_lo, s30
	s_mov_b32 s30, exec_lo
	v_cmpx_gt_i32_e64 s13, v10
	s_cbranch_execz .LBB2_2
.LBB2_75:                               ;   in Loop: Header=BB2_3 Depth=1
	v_lshlrev_b64 v[3:4], 3, v[10:11]
	s_delay_alu instid0(VALU_DEP_1) | instskip(NEXT) | instid1(VALU_DEP_1)
	v_add_co_u32 v3, s12, s16, v3
	v_add_co_ci_u32_e64 v4, s12, s17, v4, s12
	global_store_b64 v[3:4], v[1:2], off
	s_branch .LBB2_2
.LBB2_76:
	s_nop 0
	s_sendmsg sendmsg(MSG_DEALLOC_VGPRS)
	s_endpgm
	.section	.rodata,"a",@progbits
	.p2align	6, 0x0
	.amdhsa_kernel _ZL13MPCdecompressILi64EEvPlS0_PVi
		.amdhsa_group_segment_fixed_size 16392
		.amdhsa_private_segment_fixed_size 0
		.amdhsa_kernarg_size 280
		.amdhsa_user_sgpr_count 15
		.amdhsa_user_sgpr_dispatch_ptr 0
		.amdhsa_user_sgpr_queue_ptr 0
		.amdhsa_user_sgpr_kernarg_segment_ptr 1
		.amdhsa_user_sgpr_dispatch_id 0
		.amdhsa_user_sgpr_private_segment_size 0
		.amdhsa_wavefront_size32 1
		.amdhsa_uses_dynamic_stack 0
		.amdhsa_enable_private_segment 0
		.amdhsa_system_sgpr_workgroup_id_x 1
		.amdhsa_system_sgpr_workgroup_id_y 0
		.amdhsa_system_sgpr_workgroup_id_z 0
		.amdhsa_system_sgpr_workgroup_info 0
		.amdhsa_system_vgpr_workitem_id 0
		.amdhsa_next_free_vgpr 40
		.amdhsa_next_free_sgpr 32
		.amdhsa_reserve_vcc 1
		.amdhsa_float_round_mode_32 0
		.amdhsa_float_round_mode_16_64 0
		.amdhsa_float_denorm_mode_32 3
		.amdhsa_float_denorm_mode_16_64 3
		.amdhsa_dx10_clamp 1
		.amdhsa_ieee_mode 1
		.amdhsa_fp16_overflow 0
		.amdhsa_workgroup_processor_mode 1
		.amdhsa_memory_ordered 1
		.amdhsa_forward_progress 0
		.amdhsa_shared_vgpr_count 0
		.amdhsa_exception_fp_ieee_invalid_op 0
		.amdhsa_exception_fp_denorm_src 0
		.amdhsa_exception_fp_ieee_div_zero 0
		.amdhsa_exception_fp_ieee_overflow 0
		.amdhsa_exception_fp_ieee_underflow 0
		.amdhsa_exception_fp_ieee_inexact 0
		.amdhsa_exception_int_div_zero 0
	.end_amdhsa_kernel
	.section	.text._ZL13MPCdecompressILi64EEvPlS0_PVi,"axG",@progbits,_ZL13MPCdecompressILi64EEvPlS0_PVi,comdat
.Lfunc_end2:
	.size	_ZL13MPCdecompressILi64EEvPlS0_PVi, .Lfunc_end2-_ZL13MPCdecompressILi64EEvPlS0_PVi
                                        ; -- End function
	.section	.AMDGPU.csdata,"",@progbits
; Kernel info:
; codeLenInByte = 5564
; NumSgprs: 34
; NumVgprs: 40
; ScratchSize: 0
; MemoryBound: 0
; FloatMode: 240
; IeeeMode: 1
; LDSByteSize: 16392 bytes/workgroup (compile time only)
; SGPRBlocks: 4
; VGPRBlocks: 4
; NumSGPRsForWavesPerEU: 34
; NumVGPRsForWavesPerEU: 40
; Occupancy: 16
; WaveLimiterHint : 0
; COMPUTE_PGM_RSRC2:SCRATCH_EN: 0
; COMPUTE_PGM_RSRC2:USER_SGPR: 15
; COMPUTE_PGM_RSRC2:TRAP_HANDLER: 0
; COMPUTE_PGM_RSRC2:TGID_X_EN: 1
; COMPUTE_PGM_RSRC2:TGID_Y_EN: 0
; COMPUTE_PGM_RSRC2:TGID_Z_EN: 0
; COMPUTE_PGM_RSRC2:TIDIG_COMP_CNT: 0
	.section	.text._ZL13MPCdecompressILi32EEvPlS0_PVi,"axG",@progbits,_ZL13MPCdecompressILi32EEvPlS0_PVi,comdat
	.globl	_ZL13MPCdecompressILi32EEvPlS0_PVi ; -- Begin function _ZL13MPCdecompressILi32EEvPlS0_PVi
	.p2align	8
	.type	_ZL13MPCdecompressILi32EEvPlS0_PVi,@function
_ZL13MPCdecompressILi32EEvPlS0_PVi:     ; @_ZL13MPCdecompressILi32EEvPlS0_PVi
; %bb.0:
	s_load_b64 s[18:19], s[0:1], 0x0
	s_waitcnt lgkmcnt(0)
	s_load_b64 s[20:21], s[18:19], 0x0
	s_waitcnt lgkmcnt(0)
	s_add_i32 s2, s21, 0x3ff
	s_delay_alu instid0(SALU_CYCLE_1) | instskip(NEXT) | instid1(SALU_CYCLE_1)
	s_ashr_i32 s3, s2, 31
	s_lshr_b32 s3, s3, 22
	s_delay_alu instid0(SALU_CYCLE_1) | instskip(NEXT) | instid1(SALU_CYCLE_1)
	s_add_i32 s2, s2, s3
	s_ashr_i32 s24, s2, 10
	s_delay_alu instid0(SALU_CYCLE_1)
	s_cmp_ge_i32 s15, s24
	s_cbranch_scc1 .LBB3_70
; %bb.1:
	s_mov_b32 s16, s15
	s_clause 0x1
	s_load_b32 s25, s[0:1], 0x18
	s_load_b128 s[12:15], s[0:1], 0x8
	s_add_i32 s0, s21, 63
	s_add_i32 s1, s21, -1
	s_ashr_i32 s3, s0, 31
	s_add_i32 s2, s16, 1
	s_lshr_b32 s3, s3, 26
	s_or_b32 s26, s1, 63
	s_add_i32 s0, s0, s3
	v_mbcnt_lo_u32_b32 v18, -1, 0
	s_ashr_i32 s27, s0, 6
	v_cvt_f32_u32_e32 v5, v0
	s_add_i32 s27, s27, 1
	v_lshrrev_b32_e32 v2, 5, v0
	v_add_nc_u32_e32 v6, -1, v18
	v_add_nc_u32_e32 v8, -2, v18
	;; [unrolled: 1-line block ×3, first 2 shown]
	v_dual_mov_b32 v34, -1 :: v_dual_add_nc_u32 v11, -8, v18
	s_delay_alu instid0(VALU_DEP_4)
	v_cmp_gt_i32_e32 vcc_lo, 0, v6
	s_waitcnt lgkmcnt(0)
	s_cmp_lg_u32 s2, s25
	v_and_b32_e32 v1, 0x3c0, v0
	s_cselect_b32 s28, s2, 0
	s_and_b32 s22, s20, 31
	v_add_nc_u32_e32 v12, -16, v18
	s_add_i32 s20, s22, 1
	v_lshlrev_b32_e32 v19, 2, v2
	v_cvt_f32_ubyte0_e32 v3, s20
	s_ashr_i32 s17, s16, 31
	v_lshlrev_b32_e32 v13, 3, v2
	s_lshl_b64 s[10:11], s[16:17], 2
	v_cmp_ne_u16_e64 s17, s22, 31
	v_rcp_iflag_f32_e32 v7, v3
	v_lshlrev_b32_e32 v4, 3, v0
	s_add_u32 s22, s14, s10
	v_cmp_gt_u32_e64 s10, s20, v2
	s_addc_u32 s23, s15, s11
	s_ashr_i32 s29, s28, 31
	v_dual_mov_b32 v9, 0 :: v_dual_and_b32 v16, 63, v0
	s_lshl_b64 s[28:29], s[28:29], 2
	v_cmp_gt_u32_e64 s0, 32, v0
	s_waitcnt_depctr 0xfff
	v_mul_f32_e32 v7, v5, v7
	v_or_b32_e32 v21, 0x2000, v4
	v_or_b32_e32 v22, 0x21f8, v4
	v_cndmask_b32_e32 v4, v6, v18, vcc_lo
	v_lshl_or_b32 v23, v1, 3, 0x2000
	v_trunc_f32_e32 v7, v7
	v_cmp_gt_i32_e32 vcc_lo, 0, v8
	v_and_b32_e32 v17, 31, v0
	v_cmp_lt_u32_e64 s1, 31, v0
	v_cmp_eq_u32_e64 s2, 0x3ff, v0
	v_fma_f32 v1, -v7, v3, v5
	v_cndmask_b32_e32 v6, v8, v18, vcc_lo
	v_cvt_u32_f32_e32 v5, v7
	v_cmp_eq_u32_e64 s3, 0, v17
	v_cmp_ne_u32_e64 s4, 0, v17
	v_cmp_ge_f32_e64 vcc_lo, |v1|, v3
	v_cmp_lt_u32_e64 s5, 1, v17
	v_cmp_lt_u32_e64 s6, 3, v17
	;; [unrolled: 1-line block ×4, first 2 shown]
	v_add_co_ci_u32_e32 v1, vcc_lo, 0, v5, vcc_lo
	v_cmp_gt_i32_e32 vcc_lo, 0, v10
	v_lshlrev_b32_e32 v20, 2, v17
	v_cmp_eq_u32_e64 s9, 31, v17
	s_delay_alu instid0(VALU_DEP_4)
	v_mul_lo_u32 v1, v1, s20
	v_add_nc_u32_e32 v25, -8, v13
	v_cndmask_b32_e32 v3, v10, v18, vcc_lo
	v_cmp_gt_i32_e32 vcc_lo, 0, v11
	v_add_nc_u32_e32 v24, -4, v19
	v_lshlrev_b32_e32 v27, 2, v6
	s_add_u32 s14, s14, s28
	v_lshlrev_b32_e32 v28, 2, v3
	v_sub_nc_u32_e32 v1, v0, v1
	v_cndmask_b32_e32 v5, v11, v18, vcc_lo
	v_cmp_gt_i32_e32 vcc_lo, 0, v12
	v_lshlrev_b32_e32 v26, 2, v4
	v_add_nc_u32_e32 v3, s20, v17
	v_and_b32_e32 v1, 0x3ff, v1
	v_lshlrev_b32_e32 v29, 2, v5
	v_cndmask_b32_e32 v7, v12, v18, vcc_lo
	v_add_nc_u32_e32 v35, v19, v19
	v_cmp_lt_u32_e64 s11, 31, v3
	v_mad_u32_u24 v1, v2, s20, v1
	v_mul_u32_u24_e32 v2, s20, v17
	v_lshlrev_b32_e32 v30, 2, v7
	s_addc_u32 s15, s15, s29
	s_add_u32 s28, s18, 8
	v_subrev_nc_u32_e32 v4, s20, v1
	v_lshl_add_u32 v31, v2, 3, v13
	v_lshlrev_b32_e32 v32, 3, v1
	s_addc_u32 s29, s19, 0
	s_delay_alu instid0(VALU_DEP_3)
	v_lshlrev_b32_e32 v33, 3, v4
	s_branch .LBB3_3
.LBB3_2:                                ;   in Loop: Header=BB3_3 Depth=1
	s_or_b32 exec_lo, exec_lo, s30
	s_add_i32 s16, s16, s25
	s_delay_alu instid0(SALU_CYCLE_1)
	s_cmp_ge_i32 s16, s24
	s_cbranch_scc1 .LBB3_70
.LBB3_3:                                ; =>This Loop Header: Depth=1
                                        ;     Child Loop BB3_14 Depth 2
                                        ;     Child Loop BB3_48 Depth 2
	v_lshl_or_b32 v10, s16, 10, v0
	v_mov_b32_e32 v5, 0
	s_mov_b32 s30, exec_lo
	s_delay_alu instid0(VALU_DEP_2)
	v_ashrrev_i32_e32 v11, 31, v10
	v_cmpx_ge_i32_e64 s26, v10
	s_cbranch_execz .LBB3_5
; %bb.4:                                ;   in Loop: Header=BB3_3 Depth=1
	s_delay_alu instid0(VALU_DEP_2) | instskip(NEXT) | instid1(VALU_DEP_1)
	v_lshrrev_b32_e32 v1, 26, v11
	v_add_nc_u32_e32 v1, v10, v1
	s_delay_alu instid0(VALU_DEP_1) | instskip(NEXT) | instid1(VALU_DEP_1)
	v_ashrrev_i32_e32 v1, 6, v1
	v_ashrrev_i32_e32 v2, 31, v1
	s_delay_alu instid0(VALU_DEP_1) | instskip(NEXT) | instid1(VALU_DEP_1)
	v_lshlrev_b64 v[1:2], 3, v[1:2]
	v_add_co_u32 v1, vcc_lo, s28, v1
	s_delay_alu instid0(VALU_DEP_2) | instskip(SKIP_3) | instid1(VALU_DEP_1)
	v_add_co_ci_u32_e32 v2, vcc_lo, s29, v2, vcc_lo
	global_load_b64 v[1:2], v[1:2], off
	s_waitcnt vmcnt(0)
	v_lshrrev_b64 v[1:2], v16, v[1:2]
	v_and_b32_e32 v5, 1, v1
.LBB3_5:                                ;   in Loop: Header=BB3_3 Depth=1
	s_or_b32 exec_lo, exec_lo, s30
	ds_bpermute_b32 v1, v26, v5
	s_waitcnt lgkmcnt(0)
	s_waitcnt_vscnt null, 0x0
	s_barrier
	buffer_gl0_inv
	v_cndmask_b32_e64 v1, v1, 0, s3
	s_delay_alu instid0(VALU_DEP_1) | instskip(SKIP_3) | instid1(VALU_DEP_1)
	v_add_nc_u32_e32 v1, v1, v5
	ds_bpermute_b32 v2, v27, v1
	s_waitcnt lgkmcnt(0)
	v_cndmask_b32_e64 v2, 0, v2, s5
	v_add_nc_u32_e32 v1, v1, v2
	ds_bpermute_b32 v2, v28, v1
	s_waitcnt lgkmcnt(0)
	v_cndmask_b32_e64 v2, 0, v2, s6
	s_delay_alu instid0(VALU_DEP_1) | instskip(SKIP_3) | instid1(VALU_DEP_1)
	v_add_nc_u32_e32 v1, v1, v2
	ds_bpermute_b32 v2, v29, v1
	s_waitcnt lgkmcnt(0)
	v_cndmask_b32_e64 v2, 0, v2, s7
	v_add_nc_u32_e32 v1, v1, v2
	ds_bpermute_b32 v2, v30, v1
	s_waitcnt lgkmcnt(0)
	v_cndmask_b32_e64 v2, 0, v2, s8
	s_delay_alu instid0(VALU_DEP_1)
	v_add_nc_u32_e32 v1, v1, v2
	s_and_saveexec_b32 s30, s9
	s_cbranch_execz .LBB3_7
; %bb.6:                                ;   in Loop: Header=BB3_3 Depth=1
	ds_store_b32 v19, v1
.LBB3_7:                                ;   in Loop: Header=BB3_3 Depth=1
	s_or_b32 exec_lo, exec_lo, s30
	s_waitcnt lgkmcnt(0)
	s_barrier
	buffer_gl0_inv
	s_and_saveexec_b32 s30, s0
	s_cbranch_execz .LBB3_9
; %bb.8:                                ;   in Loop: Header=BB3_3 Depth=1
	ds_load_b32 v2, v20
	s_waitcnt lgkmcnt(0)
	ds_bpermute_b32 v3, v26, v2
	s_waitcnt lgkmcnt(0)
	v_cndmask_b32_e64 v3, v3, 0, s3
	s_delay_alu instid0(VALU_DEP_1) | instskip(SKIP_3) | instid1(VALU_DEP_1)
	v_add_nc_u32_e32 v2, v3, v2
	ds_bpermute_b32 v3, v27, v2
	s_waitcnt lgkmcnt(0)
	v_cndmask_b32_e64 v3, 0, v3, s5
	v_add_nc_u32_e32 v2, v3, v2
	ds_bpermute_b32 v3, v28, v2
	s_waitcnt lgkmcnt(0)
	v_cndmask_b32_e64 v3, 0, v3, s6
	s_delay_alu instid0(VALU_DEP_1) | instskip(SKIP_3) | instid1(VALU_DEP_1)
	v_add_nc_u32_e32 v2, v3, v2
	ds_bpermute_b32 v3, v29, v2
	s_waitcnt lgkmcnt(0)
	v_cndmask_b32_e64 v3, 0, v3, s7
	v_add_nc_u32_e32 v2, v3, v2
	ds_bpermute_b32 v3, v30, v2
	s_waitcnt lgkmcnt(0)
	v_cndmask_b32_e64 v3, 0, v3, s8
	s_delay_alu instid0(VALU_DEP_1)
	v_add_nc_u32_e32 v2, v3, v2
	ds_store_b32 v20, v2
.LBB3_9:                                ;   in Loop: Header=BB3_3 Depth=1
	s_or_b32 exec_lo, exec_lo, s30
	v_cndmask_b32_e64 v3, v1, v5, s3
	s_waitcnt lgkmcnt(0)
	s_barrier
	buffer_gl0_inv
	s_and_saveexec_b32 s30, s1
	s_cbranch_execz .LBB3_11
; %bb.10:                               ;   in Loop: Header=BB3_3 Depth=1
	ds_load_b32 v1, v24
	s_waitcnt lgkmcnt(0)
	v_add_nc_u32_e32 v3, v1, v3
.LBB3_11:                               ;   in Loop: Header=BB3_3 Depth=1
	s_or_b32 exec_lo, exec_lo, s30
	s_and_saveexec_b32 s30, s2
	s_cbranch_execz .LBB3_17
; %bb.12:                               ;   in Loop: Header=BB3_3 Depth=1
	v_mov_b32_e32 v4, s27
	s_cmp_lt_i32 s16, 1
	s_cbranch_scc1 .LBB3_16
; %bb.13:                               ;   in Loop: Header=BB3_3 Depth=1
	s_mov_b32 s31, 0
.LBB3_14:                               ;   Parent Loop BB3_3 Depth=1
                                        ; =>  This Inner Loop Header: Depth=2
	v_dual_mov_b32 v1, s22 :: v_dual_mov_b32 v2, s23
	flat_load_b32 v4, v[1:2] glc dlc
	s_waitcnt vmcnt(0) lgkmcnt(0)
	v_cmp_lt_i32_e32 vcc_lo, -1, v4
	s_or_b32 s31, vcc_lo, s31
	s_delay_alu instid0(SALU_CYCLE_1)
	s_and_not1_b32 exec_lo, exec_lo, s31
	s_cbranch_execnz .LBB3_14
; %bb.15:                               ;   in Loop: Header=BB3_3 Depth=1
	s_or_b32 exec_lo, exec_lo, s31
.LBB3_16:                               ;   in Loop: Header=BB3_3 Depth=1
	s_delay_alu instid0(VALU_DEP_1)
	v_dual_mov_b32 v1, s14 :: v_dual_add_nc_u32 v8, v4, v3
	v_mov_b32_e32 v2, s15
	v_dual_mov_b32 v6, s22 :: v_dual_mov_b32 v7, s23
	flat_store_b32 v[1:2], v8 dlc
	s_waitcnt_vscnt null, 0x0
	flat_store_b32 v[6:7], v34 dlc
	s_waitcnt_vscnt null, 0x0
	ds_store_b64 v9, v[3:4] offset:16384
.LBB3_17:                               ;   in Loop: Header=BB3_3 Depth=1
	s_or_b32 exec_lo, exec_lo, s30
	s_waitcnt lgkmcnt(0)
	s_barrier
	buffer_gl0_inv
	ds_load_b32 v1, v9 offset:16384
	s_mov_b32 s30, exec_lo
	s_waitcnt lgkmcnt(0)
	v_cmpx_lt_i32_e64 v0, v1
	s_cbranch_execz .LBB3_19
; %bb.18:                               ;   in Loop: Header=BB3_3 Depth=1
	ds_load_b32 v1, v9 offset:16388
	s_waitcnt lgkmcnt(0)
	v_add_nc_u32_e32 v1, v1, v0
	s_delay_alu instid0(VALU_DEP_1) | instskip(NEXT) | instid1(VALU_DEP_1)
	v_ashrrev_i32_e32 v2, 31, v1
	v_lshlrev_b64 v[1:2], 3, v[1:2]
	s_delay_alu instid0(VALU_DEP_1) | instskip(NEXT) | instid1(VALU_DEP_2)
	v_add_co_u32 v1, vcc_lo, s18, v1
	v_add_co_ci_u32_e32 v2, vcc_lo, s19, v2, vcc_lo
	global_load_b64 v[1:2], v[1:2], off
	s_waitcnt vmcnt(0)
	ds_store_b64 v21, v[1:2]
.LBB3_19:                               ;   in Loop: Header=BB3_3 Depth=1
	s_or_b32 exec_lo, exec_lo, s30
	v_mov_b32_e32 v1, 0
	v_mov_b32_e32 v2, 0
	s_mov_b32 s30, exec_lo
	s_waitcnt lgkmcnt(0)
	s_barrier
	buffer_gl0_inv
	v_cmpx_ne_u32_e32 0, v5
	s_cbranch_execz .LBB3_21
; %bb.20:                               ;   in Loop: Header=BB3_3 Depth=1
	v_lshlrev_b32_e32 v1, 3, v3
	ds_load_b64 v[1:2], v1 offset:8184
.LBB3_21:                               ;   in Loop: Header=BB3_3 Depth=1
	s_or_b32 exec_lo, exec_lo, s30
	s_waitcnt lgkmcnt(0)
	ds_bpermute_b32 v5, v26, v1
	ds_bpermute_b32 v4, v26, v2
	v_mov_b32_e32 v3, v1
	s_and_saveexec_b32 s30, s4
	s_cbranch_execz .LBB3_23
; %bb.22:                               ;   in Loop: Header=BB3_3 Depth=1
	s_waitcnt lgkmcnt(1)
	v_add_co_u32 v3, vcc_lo, v1, v5
	v_add_co_ci_u32_e32 v2, vcc_lo, 0, v2, vcc_lo
	s_delay_alu instid0(VALU_DEP_2) | instskip(SKIP_1) | instid1(VALU_DEP_2)
	v_add_co_u32 v1, vcc_lo, 0, v3
	s_waitcnt lgkmcnt(0)
	v_add_co_ci_u32_e32 v2, vcc_lo, v4, v2, vcc_lo
.LBB3_23:                               ;   in Loop: Header=BB3_3 Depth=1
	s_or_b32 exec_lo, exec_lo, s30
	s_waitcnt lgkmcnt(1)
	ds_bpermute_b32 v5, v27, v3
	s_waitcnt lgkmcnt(1)
	ds_bpermute_b32 v4, v27, v2
	s_and_saveexec_b32 s30, s5
	s_cbranch_execz .LBB3_25
; %bb.24:                               ;   in Loop: Header=BB3_3 Depth=1
	s_waitcnt lgkmcnt(1)
	v_add_co_u32 v3, vcc_lo, v1, v5
	v_add_co_ci_u32_e32 v2, vcc_lo, 0, v2, vcc_lo
	s_delay_alu instid0(VALU_DEP_2) | instskip(SKIP_1) | instid1(VALU_DEP_2)
	v_add_co_u32 v1, vcc_lo, 0, v3
	s_waitcnt lgkmcnt(0)
	v_add_co_ci_u32_e32 v2, vcc_lo, v4, v2, vcc_lo
.LBB3_25:                               ;   in Loop: Header=BB3_3 Depth=1
	s_or_b32 exec_lo, exec_lo, s30
	s_waitcnt lgkmcnt(1)
	ds_bpermute_b32 v5, v28, v3
	s_waitcnt lgkmcnt(1)
	ds_bpermute_b32 v4, v28, v2
	;; [unrolled: 16-line block ×3, first 2 shown]
	s_and_saveexec_b32 s30, s7
	s_cbranch_execz .LBB3_29
; %bb.28:                               ;   in Loop: Header=BB3_3 Depth=1
	s_waitcnt lgkmcnt(1)
	v_add_co_u32 v3, vcc_lo, v1, v5
	v_add_co_ci_u32_e32 v2, vcc_lo, 0, v2, vcc_lo
	s_delay_alu instid0(VALU_DEP_2) | instskip(SKIP_1) | instid1(VALU_DEP_2)
	v_add_co_u32 v1, vcc_lo, 0, v3
	s_waitcnt lgkmcnt(0)
	v_add_co_ci_u32_e32 v2, vcc_lo, v4, v2, vcc_lo
.LBB3_29:                               ;   in Loop: Header=BB3_3 Depth=1
	s_or_b32 exec_lo, exec_lo, s30
	s_waitcnt lgkmcnt(0)
	ds_bpermute_b32 v4, v30, v3
	ds_bpermute_b32 v3, v30, v2
	s_and_saveexec_b32 s30, s8
	s_cbranch_execz .LBB3_31
; %bb.30:                               ;   in Loop: Header=BB3_3 Depth=1
	s_waitcnt lgkmcnt(1)
	v_add_co_u32 v1, vcc_lo, v1, v4
	v_add_co_ci_u32_e32 v2, vcc_lo, 0, v2, vcc_lo
	s_delay_alu instid0(VALU_DEP_2) | instskip(SKIP_1) | instid1(VALU_DEP_2)
	v_add_co_u32 v1, vcc_lo, v1, 0
	s_waitcnt lgkmcnt(0)
	v_add_co_ci_u32_e32 v2, vcc_lo, v2, v3, vcc_lo
.LBB3_31:                               ;   in Loop: Header=BB3_3 Depth=1
	s_or_b32 exec_lo, exec_lo, s30
	s_and_saveexec_b32 s30, s9
	s_cbranch_execz .LBB3_33
; %bb.32:                               ;   in Loop: Header=BB3_3 Depth=1
	ds_store_b64 v35, v[1:2]
.LBB3_33:                               ;   in Loop: Header=BB3_3 Depth=1
	s_or_b32 exec_lo, exec_lo, s30
	s_waitcnt lgkmcnt(0)
	s_barrier
	buffer_gl0_inv
	s_and_saveexec_b32 s30, s0
	s_cbranch_execz .LBB3_45
; %bb.34:                               ;   in Loop: Header=BB3_3 Depth=1
	v_add_nc_u32_e32 v5, v20, v20
	ds_load_b64 v[3:4], v5
	s_waitcnt lgkmcnt(0)
	v_mov_b32_e32 v6, v3
	ds_bpermute_b32 v8, v26, v3
	ds_bpermute_b32 v7, v26, v4
	s_and_saveexec_b32 s31, s4
	s_cbranch_execz .LBB3_36
; %bb.35:                               ;   in Loop: Header=BB3_3 Depth=1
	s_waitcnt lgkmcnt(1)
	v_add_co_u32 v6, vcc_lo, v3, v8
	v_add_co_ci_u32_e32 v4, vcc_lo, 0, v4, vcc_lo
	s_delay_alu instid0(VALU_DEP_2) | instskip(SKIP_1) | instid1(VALU_DEP_2)
	v_add_co_u32 v3, vcc_lo, 0, v6
	s_waitcnt lgkmcnt(0)
	v_add_co_ci_u32_e32 v4, vcc_lo, v7, v4, vcc_lo
.LBB3_36:                               ;   in Loop: Header=BB3_3 Depth=1
	s_or_b32 exec_lo, exec_lo, s31
	s_waitcnt lgkmcnt(1)
	ds_bpermute_b32 v8, v27, v6
	s_waitcnt lgkmcnt(1)
	ds_bpermute_b32 v7, v27, v4
	s_and_saveexec_b32 s31, s5
	s_cbranch_execz .LBB3_38
; %bb.37:                               ;   in Loop: Header=BB3_3 Depth=1
	s_waitcnt lgkmcnt(1)
	v_add_co_u32 v6, vcc_lo, v3, v8
	v_add_co_ci_u32_e32 v4, vcc_lo, 0, v4, vcc_lo
	s_delay_alu instid0(VALU_DEP_2) | instskip(SKIP_1) | instid1(VALU_DEP_2)
	v_add_co_u32 v3, vcc_lo, 0, v6
	s_waitcnt lgkmcnt(0)
	v_add_co_ci_u32_e32 v4, vcc_lo, v7, v4, vcc_lo
.LBB3_38:                               ;   in Loop: Header=BB3_3 Depth=1
	s_or_b32 exec_lo, exec_lo, s31
	s_waitcnt lgkmcnt(1)
	ds_bpermute_b32 v8, v28, v6
	s_waitcnt lgkmcnt(1)
	;; [unrolled: 16-line block ×3, first 2 shown]
	ds_bpermute_b32 v7, v29, v4
	s_and_saveexec_b32 s31, s7
	s_cbranch_execz .LBB3_42
; %bb.41:                               ;   in Loop: Header=BB3_3 Depth=1
	s_waitcnt lgkmcnt(1)
	v_add_co_u32 v6, vcc_lo, v3, v8
	v_add_co_ci_u32_e32 v4, vcc_lo, 0, v4, vcc_lo
	s_delay_alu instid0(VALU_DEP_2) | instskip(SKIP_1) | instid1(VALU_DEP_2)
	v_add_co_u32 v3, vcc_lo, 0, v6
	s_waitcnt lgkmcnt(0)
	v_add_co_ci_u32_e32 v4, vcc_lo, v7, v4, vcc_lo
.LBB3_42:                               ;   in Loop: Header=BB3_3 Depth=1
	s_or_b32 exec_lo, exec_lo, s31
	s_waitcnt lgkmcnt(0)
	ds_bpermute_b32 v7, v30, v6
	ds_bpermute_b32 v6, v30, v4
	s_and_saveexec_b32 s31, s8
	s_cbranch_execz .LBB3_44
; %bb.43:                               ;   in Loop: Header=BB3_3 Depth=1
	s_waitcnt lgkmcnt(1)
	v_add_co_u32 v3, vcc_lo, v3, v7
	v_add_co_ci_u32_e32 v4, vcc_lo, 0, v4, vcc_lo
	s_delay_alu instid0(VALU_DEP_2) | instskip(SKIP_1) | instid1(VALU_DEP_2)
	v_add_co_u32 v3, vcc_lo, v3, 0
	s_waitcnt lgkmcnt(0)
	v_add_co_ci_u32_e32 v4, vcc_lo, v4, v6, vcc_lo
.LBB3_44:                               ;   in Loop: Header=BB3_3 Depth=1
	s_or_b32 exec_lo, exec_lo, s31
	ds_store_b64 v5, v[3:4]
.LBB3_45:                               ;   in Loop: Header=BB3_3 Depth=1
	s_or_b32 exec_lo, exec_lo, s30
	s_waitcnt lgkmcnt(0)
	s_barrier
	buffer_gl0_inv
	s_and_saveexec_b32 s30, s1
	s_cbranch_execz .LBB3_47
; %bb.46:                               ;   in Loop: Header=BB3_3 Depth=1
	ds_load_b64 v[3:4], v25
	s_waitcnt lgkmcnt(0)
	v_add_co_u32 v1, vcc_lo, v3, v1
	v_add_co_ci_u32_e32 v2, vcc_lo, v4, v2, vcc_lo
.LBB3_47:                               ;   in Loop: Header=BB3_3 Depth=1
	s_or_b32 exec_lo, exec_lo, s30
	ds_store_b64 v21, v[1:2]
	s_waitcnt lgkmcnt(0)
	s_barrier
	buffer_gl0_inv
	ds_load_b64 v[12:13], v22
	ds_load_b128 v[1:4], v23 offset:480
	ds_load_b64 v[14:15], v23 offset:496
	ds_load_b128 v[5:8], v23 offset:464
	ds_load_b128 v[36:39], v23
	s_and_not1_b32 vcc_lo, exec_lo, s17
	s_mov_b32 s30, s20
	s_waitcnt lgkmcnt(4)
	v_lshrrev_b64 v[12:13], v16, v[12:13]
	s_waitcnt lgkmcnt(3)
	v_lshrrev_b64 v[3:4], v16, v[3:4]
	v_lshrrev_b64 v[1:2], v16, v[1:2]
	s_waitcnt lgkmcnt(1)
	v_lshrrev_b64 v[7:8], v16, v[7:8]
	v_lshrrev_b64 v[5:6], v16, v[5:6]
	v_lshlrev_b32_e32 v12, 1, v12
	v_lshlrev_b32_e32 v13, 1, v3
	v_lshrrev_b64 v[3:4], v16, v[14:15]
	v_lshlrev_b32_e32 v2, 1, v7
	s_delay_alu instid0(VALU_DEP_4) | instskip(NEXT) | instid1(VALU_DEP_4)
	v_and_b32_e32 v4, 2, v12
	v_and_b32_e32 v8, 2, v13
	ds_load_b128 v[12:15], v23 offset:448
	v_and_b32_e32 v2, 2, v2
	v_and_or_b32 v3, v3, 1, v4
	s_delay_alu instid0(VALU_DEP_1) | instskip(NEXT) | instid1(VALU_DEP_1)
	v_lshl_or_b32 v3, v3, 2, v8
	v_and_or_b32 v1, v1, 1, v3
	s_delay_alu instid0(VALU_DEP_1)
	v_lshl_or_b32 v8, v1, 2, v2
	ds_load_b128 v[1:4], v23 offset:432
	s_waitcnt lgkmcnt(1)
	v_lshrrev_b64 v[6:7], v16, v[14:15]
	v_lshrrev_b64 v[12:13], v16, v[12:13]
	v_and_or_b32 v8, v5, 1, v8
	s_delay_alu instid0(VALU_DEP_3) | instskip(NEXT) | instid1(VALU_DEP_3)
	v_lshlrev_b32_e32 v5, 1, v6
	v_and_b32_e32 v12, 1, v12
	s_delay_alu instid0(VALU_DEP_3) | instskip(NEXT) | instid1(VALU_DEP_1)
	v_lshlrev_b64 v[13:14], 2, v[8:9]
	v_and_or_b32 v13, v5, 2, v13
	ds_load_b128 v[5:8], v23 offset:416
	s_waitcnt lgkmcnt(1)
	v_lshrrev_b64 v[3:4], v16, v[3:4]
	v_or_b32_e32 v13, v12, v13
	v_lshrrev_b64 v[1:2], v16, v[1:2]
	s_delay_alu instid0(VALU_DEP_2) | instskip(NEXT) | instid1(VALU_DEP_4)
	v_lshlrev_b64 v[12:13], 2, v[13:14]
	v_lshlrev_b32_e32 v2, 1, v3
	s_delay_alu instid0(VALU_DEP_3) | instskip(NEXT) | instid1(VALU_DEP_2)
	v_and_b32_e32 v14, 1, v1
	v_and_or_b32 v12, v2, 2, v12
	ds_load_b128 v[1:4], v23 offset:400
	s_waitcnt lgkmcnt(1)
	v_lshrrev_b64 v[7:8], v16, v[7:8]
	v_or_b32_e32 v12, v14, v12
	v_lshrrev_b64 v[5:6], v16, v[5:6]
	s_delay_alu instid0(VALU_DEP_2) | instskip(NEXT) | instid1(VALU_DEP_4)
	v_lshlrev_b64 v[12:13], 2, v[12:13]
	v_lshlrev_b32_e32 v6, 1, v7
	s_delay_alu instid0(VALU_DEP_3) | instskip(NEXT) | instid1(VALU_DEP_2)
	v_and_b32_e32 v14, 1, v5
	;; [unrolled: 11-line block ×24, first 2 shown]
	v_and_or_b32 v12, v6, 2, v12
	ds_load_b128 v[5:8], v23 offset:32
	s_waitcnt lgkmcnt(1)
	v_lshrrev_b64 v[3:4], v16, v[3:4]
	v_or_b32_e32 v12, v14, v12
	v_lshrrev_b64 v[14:15], v16, v[1:2]
	s_delay_alu instid0(VALU_DEP_2) | instskip(NEXT) | instid1(VALU_DEP_4)
	v_lshlrev_b64 v[12:13], 2, v[12:13]
	v_lshlrev_b32_e32 v15, 1, v3
	ds_load_b128 v[1:4], v23 offset:16
	v_and_b32_e32 v14, 1, v14
	v_and_or_b32 v12, v15, 2, v12
	s_waitcnt lgkmcnt(1)
	v_lshrrev_b64 v[7:8], v16, v[7:8]
	s_delay_alu instid0(VALU_DEP_2) | instskip(SKIP_1) | instid1(VALU_DEP_2)
	v_or_b32_e32 v12, v14, v12
	v_lshrrev_b64 v[5:6], v16, v[5:6]
	v_lshlrev_b64 v[12:13], 2, v[12:13]
	s_delay_alu instid0(VALU_DEP_4) | instskip(NEXT) | instid1(VALU_DEP_3)
	v_lshlrev_b32_e32 v6, 1, v7
	v_and_b32_e32 v5, 1, v5
	s_delay_alu instid0(VALU_DEP_2) | instskip(SKIP_3) | instid1(VALU_DEP_3)
	v_and_or_b32 v6, v6, 2, v12
	s_waitcnt lgkmcnt(0)
	v_lshrrev_b64 v[3:4], v16, v[3:4]
	v_lshrrev_b64 v[1:2], v16, v[1:2]
	v_or_b32_e32 v12, v5, v6
	v_lshrrev_b64 v[6:7], v16, v[36:37]
	s_delay_alu instid0(VALU_DEP_4) | instskip(NEXT) | instid1(VALU_DEP_4)
	v_lshlrev_b32_e32 v2, 1, v3
	v_and_b32_e32 v1, 1, v1
	s_delay_alu instid0(VALU_DEP_4) | instskip(NEXT) | instid1(VALU_DEP_1)
	v_lshlrev_b64 v[4:5], 2, v[12:13]
	v_and_or_b32 v2, v2, 2, v4
	v_lshrrev_b64 v[3:4], v16, v[38:39]
	s_delay_alu instid0(VALU_DEP_2) | instskip(NEXT) | instid1(VALU_DEP_2)
	v_or_b32_e32 v4, v1, v2
	v_lshlrev_b32_e32 v3, 1, v3
	s_delay_alu instid0(VALU_DEP_2) | instskip(NEXT) | instid1(VALU_DEP_1)
	v_lshlrev_b64 v[1:2], 2, v[4:5]
	v_and_or_b32 v1, v3, 2, v1
	v_and_b32_e32 v3, 1, v6
	s_delay_alu instid0(VALU_DEP_1)
	v_or_b32_e32 v1, v3, v1
	s_cbranch_vccnz .LBB3_52
	.p2align	6
.LBB3_48:                               ;   Parent Loop BB3_3 Depth=1
                                        ; =>  This Inner Loop Header: Depth=2
	s_waitcnt lgkmcnt(0)
	v_subrev_nc_u32_e32 v3, s30, v18
	s_mov_b32 s31, exec_lo
	s_delay_alu instid0(VALU_DEP_1) | instskip(SKIP_1) | instid1(VALU_DEP_1)
	v_cmp_gt_i32_e32 vcc_lo, 0, v3
	v_cndmask_b32_e32 v3, v3, v18, vcc_lo
	v_lshlrev_b32_e32 v3, 2, v3
	ds_bpermute_b32 v4, v3, v1
	ds_bpermute_b32 v3, v3, v2
	v_cmpx_le_u32_e64 s30, v17
	s_cbranch_execz .LBB3_50
; %bb.49:                               ;   in Loop: Header=BB3_48 Depth=2
	s_waitcnt lgkmcnt(1)
	v_add_co_u32 v1, vcc_lo, v1, v4
	v_add_co_ci_u32_e32 v2, vcc_lo, 0, v2, vcc_lo
	s_delay_alu instid0(VALU_DEP_2) | instskip(SKIP_1) | instid1(VALU_DEP_2)
	v_add_co_u32 v1, vcc_lo, v1, 0
	s_waitcnt lgkmcnt(0)
	v_add_co_ci_u32_e32 v2, vcc_lo, v2, v3, vcc_lo
.LBB3_50:                               ;   in Loop: Header=BB3_48 Depth=2
	s_or_b32 exec_lo, exec_lo, s31
	s_lshl_b32 s31, s30, 1
	s_cmp_gt_u32 s30, 15
	s_cbranch_scc1 .LBB3_52
; %bb.51:                               ;   in Loop: Header=BB3_48 Depth=2
	s_mov_b32 s30, s31
	s_branch .LBB3_48
.LBB3_52:                               ;   in Loop: Header=BB3_3 Depth=1
	s_and_saveexec_b32 s30, s11
	s_cbranch_execz .LBB3_54
; %bb.53:                               ;   in Loop: Header=BB3_3 Depth=1
	ds_store_b64 v32, v[1:2]
.LBB3_54:                               ;   in Loop: Header=BB3_3 Depth=1
	s_or_b32 exec_lo, exec_lo, s30
	s_waitcnt lgkmcnt(0)
	s_barrier
	buffer_gl0_inv
	s_and_saveexec_b32 s30, s10
	s_cbranch_execz .LBB3_66
; %bb.55:                               ;   in Loop: Header=BB3_3 Depth=1
	ds_load_b64 v[3:4], v31
	s_waitcnt lgkmcnt(0)
	ds_bpermute_b32 v7, v26, v3
	ds_bpermute_b32 v6, v26, v4
	v_mov_b32_e32 v5, v3
	s_and_saveexec_b32 s31, s4
	s_cbranch_execz .LBB3_57
; %bb.56:                               ;   in Loop: Header=BB3_3 Depth=1
	s_waitcnt lgkmcnt(1)
	v_add_co_u32 v5, vcc_lo, v3, v7
	v_add_co_ci_u32_e32 v4, vcc_lo, 0, v4, vcc_lo
	s_delay_alu instid0(VALU_DEP_2) | instskip(SKIP_1) | instid1(VALU_DEP_2)
	v_add_co_u32 v3, vcc_lo, 0, v5
	s_waitcnt lgkmcnt(0)
	v_add_co_ci_u32_e32 v4, vcc_lo, v6, v4, vcc_lo
.LBB3_57:                               ;   in Loop: Header=BB3_3 Depth=1
	s_or_b32 exec_lo, exec_lo, s31
	s_waitcnt lgkmcnt(1)
	ds_bpermute_b32 v7, v27, v5
	s_waitcnt lgkmcnt(1)
	ds_bpermute_b32 v6, v27, v4
	s_and_saveexec_b32 s31, s5
	s_cbranch_execz .LBB3_59
; %bb.58:                               ;   in Loop: Header=BB3_3 Depth=1
	s_waitcnt lgkmcnt(1)
	v_add_co_u32 v5, vcc_lo, v3, v7
	v_add_co_ci_u32_e32 v4, vcc_lo, 0, v4, vcc_lo
	s_delay_alu instid0(VALU_DEP_2) | instskip(SKIP_1) | instid1(VALU_DEP_2)
	v_add_co_u32 v3, vcc_lo, 0, v5
	s_waitcnt lgkmcnt(0)
	v_add_co_ci_u32_e32 v4, vcc_lo, v6, v4, vcc_lo
.LBB3_59:                               ;   in Loop: Header=BB3_3 Depth=1
	s_or_b32 exec_lo, exec_lo, s31
	s_waitcnt lgkmcnt(1)
	ds_bpermute_b32 v7, v28, v5
	s_waitcnt lgkmcnt(1)
	ds_bpermute_b32 v6, v28, v4
	s_and_saveexec_b32 s31, s6
	s_cbranch_execz .LBB3_61
; %bb.60:                               ;   in Loop: Header=BB3_3 Depth=1
	s_waitcnt lgkmcnt(1)
	v_add_co_u32 v5, vcc_lo, v3, v7
	v_add_co_ci_u32_e32 v4, vcc_lo, 0, v4, vcc_lo
	s_delay_alu instid0(VALU_DEP_2) | instskip(SKIP_1) | instid1(VALU_DEP_2)
	v_add_co_u32 v3, vcc_lo, 0, v5
	s_waitcnt lgkmcnt(0)
	v_add_co_ci_u32_e32 v4, vcc_lo, v6, v4, vcc_lo
.LBB3_61:                               ;   in Loop: Header=BB3_3 Depth=1
	s_or_b32 exec_lo, exec_lo, s31
	s_waitcnt lgkmcnt(1)
	ds_bpermute_b32 v7, v29, v5
	s_waitcnt lgkmcnt(1)
	ds_bpermute_b32 v6, v29, v4
	s_and_saveexec_b32 s31, s7
	s_cbranch_execz .LBB3_63
; %bb.62:                               ;   in Loop: Header=BB3_3 Depth=1
	s_waitcnt lgkmcnt(1)
	v_add_co_u32 v5, vcc_lo, v3, v7
	v_add_co_ci_u32_e32 v4, vcc_lo, 0, v4, vcc_lo
	s_delay_alu instid0(VALU_DEP_2) | instskip(SKIP_1) | instid1(VALU_DEP_2)
	v_add_co_u32 v3, vcc_lo, 0, v5
	s_waitcnt lgkmcnt(0)
	v_add_co_ci_u32_e32 v4, vcc_lo, v6, v4, vcc_lo
.LBB3_63:                               ;   in Loop: Header=BB3_3 Depth=1
	s_or_b32 exec_lo, exec_lo, s31
	s_waitcnt lgkmcnt(0)
	ds_bpermute_b32 v6, v30, v5
	ds_bpermute_b32 v5, v30, v4
	s_and_saveexec_b32 s31, s8
	s_cbranch_execz .LBB3_65
; %bb.64:                               ;   in Loop: Header=BB3_3 Depth=1
	s_waitcnt lgkmcnt(1)
	v_add_co_u32 v3, vcc_lo, v3, v6
	v_add_co_ci_u32_e32 v4, vcc_lo, 0, v4, vcc_lo
	s_delay_alu instid0(VALU_DEP_2) | instskip(SKIP_1) | instid1(VALU_DEP_2)
	v_add_co_u32 v3, vcc_lo, v3, 0
	s_waitcnt lgkmcnt(0)
	v_add_co_ci_u32_e32 v4, vcc_lo, v4, v5, vcc_lo
.LBB3_65:                               ;   in Loop: Header=BB3_3 Depth=1
	s_or_b32 exec_lo, exec_lo, s31
	ds_store_b64 v31, v[3:4]
.LBB3_66:                               ;   in Loop: Header=BB3_3 Depth=1
	s_or_b32 exec_lo, exec_lo, s30
	s_waitcnt lgkmcnt(0)
	s_barrier
	buffer_gl0_inv
	s_and_saveexec_b32 s30, s1
	s_cbranch_execnz .LBB3_68
; %bb.67:                               ;   in Loop: Header=BB3_3 Depth=1
	s_or_b32 exec_lo, exec_lo, s30
	s_delay_alu instid0(SALU_CYCLE_1)
	s_mov_b32 s30, exec_lo
	v_cmpx_gt_i32_e64 s21, v10
	s_cbranch_execz .LBB3_2
	s_branch .LBB3_69
.LBB3_68:                               ;   in Loop: Header=BB3_3 Depth=1
	ds_load_b64 v[3:4], v33
	s_waitcnt lgkmcnt(0)
	v_add_co_u32 v1, vcc_lo, v3, v1
	v_add_co_ci_u32_e32 v2, vcc_lo, v4, v2, vcc_lo
	s_or_b32 exec_lo, exec_lo, s30
	s_delay_alu instid0(SALU_CYCLE_1)
	s_mov_b32 s30, exec_lo
	v_cmpx_gt_i32_e64 s21, v10
	s_cbranch_execz .LBB3_2
.LBB3_69:                               ;   in Loop: Header=BB3_3 Depth=1
	v_lshlrev_b64 v[3:4], 3, v[10:11]
	s_delay_alu instid0(VALU_DEP_1) | instskip(NEXT) | instid1(VALU_DEP_2)
	v_add_co_u32 v3, vcc_lo, s12, v3
	v_add_co_ci_u32_e32 v4, vcc_lo, s13, v4, vcc_lo
	global_store_b64 v[3:4], v[1:2], off
	s_branch .LBB3_2
.LBB3_70:
	s_nop 0
	s_sendmsg sendmsg(MSG_DEALLOC_VGPRS)
	s_endpgm
	.section	.rodata,"a",@progbits
	.p2align	6, 0x0
	.amdhsa_kernel _ZL13MPCdecompressILi32EEvPlS0_PVi
		.amdhsa_group_segment_fixed_size 16392
		.amdhsa_private_segment_fixed_size 0
		.amdhsa_kernarg_size 280
		.amdhsa_user_sgpr_count 15
		.amdhsa_user_sgpr_dispatch_ptr 0
		.amdhsa_user_sgpr_queue_ptr 0
		.amdhsa_user_sgpr_kernarg_segment_ptr 1
		.amdhsa_user_sgpr_dispatch_id 0
		.amdhsa_user_sgpr_private_segment_size 0
		.amdhsa_wavefront_size32 1
		.amdhsa_uses_dynamic_stack 0
		.amdhsa_enable_private_segment 0
		.amdhsa_system_sgpr_workgroup_id_x 1
		.amdhsa_system_sgpr_workgroup_id_y 0
		.amdhsa_system_sgpr_workgroup_id_z 0
		.amdhsa_system_sgpr_workgroup_info 0
		.amdhsa_system_vgpr_workitem_id 0
		.amdhsa_next_free_vgpr 40
		.amdhsa_next_free_sgpr 32
		.amdhsa_reserve_vcc 1
		.amdhsa_float_round_mode_32 0
		.amdhsa_float_round_mode_16_64 0
		.amdhsa_float_denorm_mode_32 3
		.amdhsa_float_denorm_mode_16_64 3
		.amdhsa_dx10_clamp 1
		.amdhsa_ieee_mode 1
		.amdhsa_fp16_overflow 0
		.amdhsa_workgroup_processor_mode 1
		.amdhsa_memory_ordered 1
		.amdhsa_forward_progress 0
		.amdhsa_shared_vgpr_count 0
		.amdhsa_exception_fp_ieee_invalid_op 0
		.amdhsa_exception_fp_denorm_src 0
		.amdhsa_exception_fp_ieee_div_zero 0
		.amdhsa_exception_fp_ieee_overflow 0
		.amdhsa_exception_fp_ieee_underflow 0
		.amdhsa_exception_fp_ieee_inexact 0
		.amdhsa_exception_int_div_zero 0
	.end_amdhsa_kernel
	.section	.text._ZL13MPCdecompressILi32EEvPlS0_PVi,"axG",@progbits,_ZL13MPCdecompressILi32EEvPlS0_PVi,comdat
.Lfunc_end3:
	.size	_ZL13MPCdecompressILi32EEvPlS0_PVi, .Lfunc_end3-_ZL13MPCdecompressILi32EEvPlS0_PVi
                                        ; -- End function
	.section	.AMDGPU.csdata,"",@progbits
; Kernel info:
; codeLenInByte = 4996
; NumSgprs: 34
; NumVgprs: 40
; ScratchSize: 0
; MemoryBound: 0
; FloatMode: 240
; IeeeMode: 1
; LDSByteSize: 16392 bytes/workgroup (compile time only)
; SGPRBlocks: 4
; VGPRBlocks: 4
; NumSGPRsForWavesPerEU: 34
; NumVGPRsForWavesPerEU: 40
; Occupancy: 16
; WaveLimiterHint : 0
; COMPUTE_PGM_RSRC2:SCRATCH_EN: 0
; COMPUTE_PGM_RSRC2:USER_SGPR: 15
; COMPUTE_PGM_RSRC2:TRAP_HANDLER: 0
; COMPUTE_PGM_RSRC2:TGID_X_EN: 1
; COMPUTE_PGM_RSRC2:TGID_Y_EN: 0
; COMPUTE_PGM_RSRC2:TGID_Z_EN: 0
; COMPUTE_PGM_RSRC2:TIDIG_COMP_CNT: 0
	.text
	.p2alignl 7, 3214868480
	.fill 96, 4, 3214868480
	.type	__hip_cuid_83f1eb5bfc7d56fa,@object ; @__hip_cuid_83f1eb5bfc7d56fa
	.section	.bss,"aw",@nobits
	.globl	__hip_cuid_83f1eb5bfc7d56fa
__hip_cuid_83f1eb5bfc7d56fa:
	.byte	0                               ; 0x0
	.size	__hip_cuid_83f1eb5bfc7d56fa, 1

	.ident	"AMD clang version 19.0.0git (https://github.com/RadeonOpenCompute/llvm-project roc-6.4.0 25133 c7fe45cf4b819c5991fe208aaa96edf142730f1d)"
	.section	".note.GNU-stack","",@progbits
	.addrsig
	.addrsig_sym __hip_cuid_83f1eb5bfc7d56fa
	.amdgpu_metadata
---
amdhsa.kernels:
  - .args:
      - .offset:         0
        .size:           4
        .value_kind:     by_value
      - .actual_access:  read_only
        .address_space:  global
        .offset:         8
        .size:           8
        .value_kind:     global_buffer
      - .actual_access:  write_only
        .address_space:  global
        .offset:         16
        .size:           8
        .value_kind:     global_buffer
      - .address_space:  global
        .offset:         24
        .size:           8
        .value_kind:     global_buffer
      - .offset:         32
        .size:           1
        .value_kind:     by_value
      - .offset:         40
        .size:           4
        .value_kind:     hidden_block_count_x
      - .offset:         44
        .size:           4
        .value_kind:     hidden_block_count_y
      - .offset:         48
        .size:           4
        .value_kind:     hidden_block_count_z
      - .offset:         52
        .size:           2
        .value_kind:     hidden_group_size_x
      - .offset:         54
        .size:           2
        .value_kind:     hidden_group_size_y
      - .offset:         56
        .size:           2
        .value_kind:     hidden_group_size_z
      - .offset:         58
        .size:           2
        .value_kind:     hidden_remainder_x
      - .offset:         60
        .size:           2
        .value_kind:     hidden_remainder_y
      - .offset:         62
        .size:           2
        .value_kind:     hidden_remainder_z
      - .offset:         80
        .size:           8
        .value_kind:     hidden_global_offset_x
      - .offset:         88
        .size:           8
        .value_kind:     hidden_global_offset_y
      - .offset:         96
        .size:           8
        .value_kind:     hidden_global_offset_z
      - .offset:         104
        .size:           2
        .value_kind:     hidden_grid_dims
    .group_segment_fixed_size: 16392
    .kernarg_segment_align: 8
    .kernarg_segment_size: 296
    .language:       OpenCL C
    .language_version:
      - 2
      - 0
    .max_flat_workgroup_size: 1024
    .name:           _ZL11MPCcompressILi64EEviPlS0_PVih
    .private_segment_fixed_size: 0
    .sgpr_count:     36
    .sgpr_spill_count: 0
    .symbol:         _ZL11MPCcompressILi64EEviPlS0_PVih.kd
    .uniform_work_group_size: 1
    .uses_dynamic_stack: false
    .vgpr_count:     37
    .vgpr_spill_count: 0
    .wavefront_size: 32
    .workgroup_processor_mode: 1
  - .args:
      - .offset:         0
        .size:           4
        .value_kind:     by_value
      - .actual_access:  read_only
        .address_space:  global
        .offset:         8
        .size:           8
        .value_kind:     global_buffer
      - .actual_access:  write_only
        .address_space:  global
        .offset:         16
        .size:           8
        .value_kind:     global_buffer
      - .address_space:  global
        .offset:         24
        .size:           8
        .value_kind:     global_buffer
      - .offset:         32
        .size:           1
        .value_kind:     by_value
      - .offset:         40
        .size:           4
        .value_kind:     hidden_block_count_x
      - .offset:         44
        .size:           4
        .value_kind:     hidden_block_count_y
      - .offset:         48
        .size:           4
        .value_kind:     hidden_block_count_z
      - .offset:         52
        .size:           2
        .value_kind:     hidden_group_size_x
      - .offset:         54
        .size:           2
        .value_kind:     hidden_group_size_y
      - .offset:         56
        .size:           2
        .value_kind:     hidden_group_size_z
      - .offset:         58
        .size:           2
        .value_kind:     hidden_remainder_x
      - .offset:         60
        .size:           2
        .value_kind:     hidden_remainder_y
      - .offset:         62
        .size:           2
        .value_kind:     hidden_remainder_z
      - .offset:         80
        .size:           8
        .value_kind:     hidden_global_offset_x
      - .offset:         88
        .size:           8
        .value_kind:     hidden_global_offset_y
      - .offset:         96
        .size:           8
        .value_kind:     hidden_global_offset_z
      - .offset:         104
        .size:           2
        .value_kind:     hidden_grid_dims
    .group_segment_fixed_size: 16392
    .kernarg_segment_align: 8
    .kernarg_segment_size: 296
    .language:       OpenCL C
    .language_version:
      - 2
      - 0
    .max_flat_workgroup_size: 1024
    .name:           _ZL11MPCcompressILi32EEviPlS0_PVih
    .private_segment_fixed_size: 0
    .sgpr_count:     37
    .sgpr_spill_count: 0
    .symbol:         _ZL11MPCcompressILi32EEviPlS0_PVih.kd
    .uniform_work_group_size: 1
    .uses_dynamic_stack: false
    .vgpr_count:     35
    .vgpr_spill_count: 0
    .wavefront_size: 32
    .workgroup_processor_mode: 1
  - .args:
      - .actual_access:  read_only
        .address_space:  global
        .offset:         0
        .size:           8
        .value_kind:     global_buffer
      - .actual_access:  write_only
        .address_space:  global
        .offset:         8
        .size:           8
        .value_kind:     global_buffer
      - .address_space:  global
        .offset:         16
        .size:           8
        .value_kind:     global_buffer
      - .offset:         24
        .size:           4
        .value_kind:     hidden_block_count_x
      - .offset:         28
        .size:           4
        .value_kind:     hidden_block_count_y
      - .offset:         32
        .size:           4
        .value_kind:     hidden_block_count_z
      - .offset:         36
        .size:           2
        .value_kind:     hidden_group_size_x
      - .offset:         38
        .size:           2
        .value_kind:     hidden_group_size_y
      - .offset:         40
        .size:           2
        .value_kind:     hidden_group_size_z
      - .offset:         42
        .size:           2
        .value_kind:     hidden_remainder_x
      - .offset:         44
        .size:           2
        .value_kind:     hidden_remainder_y
      - .offset:         46
        .size:           2
        .value_kind:     hidden_remainder_z
      - .offset:         64
        .size:           8
        .value_kind:     hidden_global_offset_x
      - .offset:         72
        .size:           8
        .value_kind:     hidden_global_offset_y
      - .offset:         80
        .size:           8
        .value_kind:     hidden_global_offset_z
      - .offset:         88
        .size:           2
        .value_kind:     hidden_grid_dims
    .group_segment_fixed_size: 16392
    .kernarg_segment_align: 8
    .kernarg_segment_size: 280
    .language:       OpenCL C
    .language_version:
      - 2
      - 0
    .max_flat_workgroup_size: 1024
    .name:           _ZL13MPCdecompressILi64EEvPlS0_PVi
    .private_segment_fixed_size: 0
    .sgpr_count:     34
    .sgpr_spill_count: 0
    .symbol:         _ZL13MPCdecompressILi64EEvPlS0_PVi.kd
    .uniform_work_group_size: 1
    .uses_dynamic_stack: false
    .vgpr_count:     40
    .vgpr_spill_count: 0
    .wavefront_size: 32
    .workgroup_processor_mode: 1
  - .args:
      - .actual_access:  read_only
        .address_space:  global
        .offset:         0
        .size:           8
        .value_kind:     global_buffer
      - .actual_access:  write_only
        .address_space:  global
        .offset:         8
        .size:           8
        .value_kind:     global_buffer
      - .address_space:  global
        .offset:         16
        .size:           8
        .value_kind:     global_buffer
      - .offset:         24
        .size:           4
        .value_kind:     hidden_block_count_x
      - .offset:         28
        .size:           4
        .value_kind:     hidden_block_count_y
      - .offset:         32
        .size:           4
        .value_kind:     hidden_block_count_z
      - .offset:         36
        .size:           2
        .value_kind:     hidden_group_size_x
      - .offset:         38
        .size:           2
        .value_kind:     hidden_group_size_y
      - .offset:         40
        .size:           2
        .value_kind:     hidden_group_size_z
      - .offset:         42
        .size:           2
        .value_kind:     hidden_remainder_x
      - .offset:         44
        .size:           2
        .value_kind:     hidden_remainder_y
      - .offset:         46
        .size:           2
        .value_kind:     hidden_remainder_z
      - .offset:         64
        .size:           8
        .value_kind:     hidden_global_offset_x
      - .offset:         72
        .size:           8
        .value_kind:     hidden_global_offset_y
      - .offset:         80
        .size:           8
        .value_kind:     hidden_global_offset_z
      - .offset:         88
        .size:           2
        .value_kind:     hidden_grid_dims
    .group_segment_fixed_size: 16392
    .kernarg_segment_align: 8
    .kernarg_segment_size: 280
    .language:       OpenCL C
    .language_version:
      - 2
      - 0
    .max_flat_workgroup_size: 1024
    .name:           _ZL13MPCdecompressILi32EEvPlS0_PVi
    .private_segment_fixed_size: 0
    .sgpr_count:     34
    .sgpr_spill_count: 0
    .symbol:         _ZL13MPCdecompressILi32EEvPlS0_PVi.kd
    .uniform_work_group_size: 1
    .uses_dynamic_stack: false
    .vgpr_count:     40
    .vgpr_spill_count: 0
    .wavefront_size: 32
    .workgroup_processor_mode: 1
amdhsa.target:   amdgcn-amd-amdhsa--gfx1100
amdhsa.version:
  - 1
  - 2
...

	.end_amdgpu_metadata
